;; amdgpu-corpus repo=pytorch/pytorch kind=compiled arch=gfx906 opt=O3
	.amdgcn_target "amdgcn-amd-amdhsa--gfx906"
	.amdhsa_code_object_version 6
	.section	.text._ZN2at6native12_GLOBAL__N_115adaptivemaxpoolIdEEvPKT_PS3_Pliiiilll,"axG",@progbits,_ZN2at6native12_GLOBAL__N_115adaptivemaxpoolIdEEvPKT_PS3_Pliiiilll,comdat
	.globl	_ZN2at6native12_GLOBAL__N_115adaptivemaxpoolIdEEvPKT_PS3_Pliiiilll ; -- Begin function _ZN2at6native12_GLOBAL__N_115adaptivemaxpoolIdEEvPKT_PS3_Pliiiilll
	.p2align	8
	.type	_ZN2at6native12_GLOBAL__N_115adaptivemaxpoolIdEEvPKT_PS3_Pliiiilll,@function
_ZN2at6native12_GLOBAL__N_115adaptivemaxpoolIdEEvPKT_PS3_Pliiiilll: ; @_ZN2at6native12_GLOBAL__N_115adaptivemaxpoolIdEEvPKT_PS3_Pliiiilll
; %bb.0:
	s_load_dword s10, s[4:5], 0x4c
	s_load_dwordx4 s[12:15], s[4:5], 0x18
	s_add_u32 s8, s4, 64
	s_addc_u32 s9, s5, 0
	s_waitcnt lgkmcnt(0)
	s_lshr_b32 s11, s10, 16
	s_mul_i32 s7, s7, s11
	v_add_u32_e32 v15, s7, v1
	v_cmp_gt_i32_e32 vcc, s14, v15
	s_and_saveexec_b64 s[0:1], vcc
	s_cbranch_execz .LBB0_38
; %bb.1:
	s_load_dword s40, s[8:9], 0x4
	s_load_dwordx4 s[16:19], s[4:5], 0x0
	s_load_dwordx2 s[20:21], s[4:5], 0x10
	s_load_dwordx4 s[0:3], s[4:5], 0x28
	s_load_dwordx2 s[22:23], s[4:5], 0x38
	s_mul_i32 s4, s14, s6
	s_mul_i32 s4, s4, s15
	s_ashr_i32 s5, s4, 31
	s_and_b32 s33, s10, 0xffff
	s_lshl_b64 s[4:5], s[4:5], 3
	s_waitcnt lgkmcnt(0)
	s_add_u32 s41, s18, s4
	s_addc_u32 s42, s19, s5
	s_ashr_i32 s7, s6, 31
	s_add_u32 s43, s20, s4
	s_addc_u32 s44, s21, s5
	s_mul_hi_u32 s4, s0, s6
	s_mul_i32 s5, s0, s7
	s_add_i32 s4, s4, s5
	s_mul_i32 s1, s1, s6
	s_add_i32 s1, s4, s1
	s_mul_i32 s0, s0, s6
	s_ashr_i32 s45, s14, 31
	s_ashr_i32 s47, s12, 31
	;; [unrolled: 1-line block ×4, first 2 shown]
	s_lshl_b64 s[0:1], s[0:1], 3
	s_add_u32 s10, s16, s0
	s_mul_i32 s40, s40, s11
	s_addc_u32 s11, s17, s1
	s_ashr_i32 s51, s14, 31
	s_add_i32 s0, s14, s51
	s_xor_b32 s52, s0, s51
	s_mov_b32 s46, s14
	v_cvt_f32_u32_e32 v1, s52
	v_cvt_f32_u32_e32 v2, s46
	s_lshl_b64 s[16:17], s[2:3], 3
	s_sub_i32 s2, 0, s52
	v_rcp_iflag_f32_e32 v1, v1
	v_rcp_iflag_f32_e32 v2, v2
	s_mov_b32 s48, s12
	v_cmp_gt_i32_e64 s[0:1], s15, v0
	v_mul_f32_e32 v1, 0x4f7ffffe, v1
	v_cvt_u32_f32_e32 v1, v1
	v_mul_f32_e32 v2, 0x4f7ffffe, v2
	v_cvt_u32_f32_e32 v3, v2
	s_mov_b32 s53, s15
	v_mul_lo_u32 v2, s2, v1
	s_sub_i32 s2, 0, s14
	v_mul_lo_u32 v4, s2, v3
	s_mov_b32 s54, s13
	v_mul_hi_u32 v5, v1, v2
	s_lshl_b64 s[18:19], s[22:23], 3
	v_mul_hi_u32 v4, v3, v4
	s_mov_b64 s[20:21], 0
	v_mov_b32_e32 v2, 0
	s_mov_b32 s22, 0
	v_add_u32_e32 v16, v1, v5
	v_add_u32_e32 v17, v3, v4
	s_ashr_i32 s24, s45, 31
	s_branch .LBB0_3
.LBB0_2:                                ;   in Loop: Header=BB0_3 Depth=1
	s_or_b64 exec, exec, s[26:27]
	v_add_u32_e32 v15, s40, v15
	v_cmp_le_i32_e32 vcc, s14, v15
	s_or_b64 s[20:21], vcc, s[20:21]
	s_andn2_b64 exec, exec, s[20:21]
	s_cbranch_execz .LBB0_38
.LBB0_3:                                ; =>This Loop Header: Depth=1
                                        ;     Child Loop BB0_19 Depth 2
                                        ;       Child Loop BB0_34 Depth 3
                                        ;         Child Loop BB0_36 Depth 4
	v_ashrrev_i32_e32 v8, 31, v15
	v_or_b32_e32 v4, s45, v8
	v_mov_b32_e32 v3, v2
	v_cmp_ne_u64_e32 vcc, 0, v[3:4]
                                        ; implicit-def: $vgpr5_vgpr6
	s_and_saveexec_b64 s[2:3], vcc
	s_xor_b64 s[2:3], exec, s[2:3]
	s_cbranch_execz .LBB0_5
; %bb.4:                                ;   in Loop: Header=BB0_3 Depth=1
	v_ashrrev_i32_e32 v1, 31, v15
	v_add_u32_e32 v3, v15, v1
	v_xor_b32_e32 v3, v3, v1
	v_mul_hi_u32 v4, v3, v16
	v_xor_b32_e32 v1, s51, v1
	v_mul_lo_u32 v5, v4, s52
	v_add_u32_e32 v6, 1, v4
	v_sub_u32_e32 v3, v3, v5
	v_subrev_u32_e32 v5, s52, v3
	v_cmp_le_u32_e32 vcc, s52, v3
	v_cndmask_b32_e32 v3, v3, v5, vcc
	v_cndmask_b32_e32 v4, v4, v6, vcc
	v_add_u32_e32 v5, 1, v4
	v_cmp_le_u32_e32 vcc, s52, v3
	v_cndmask_b32_e32 v3, v4, v5, vcc
	v_xor_b32_e32 v3, v3, v1
	v_sub_u32_e32 v5, v3, v1
	v_ashrrev_i32_e32 v6, 31, v5
.LBB0_5:                                ;   in Loop: Header=BB0_3 Depth=1
	s_andn2_saveexec_b64 s[2:3], s[2:3]
	s_cbranch_execz .LBB0_7
; %bb.6:                                ;   in Loop: Header=BB0_3 Depth=1
	v_mul_hi_u32 v1, v15, v17
	v_mul_lo_u32 v3, v1, s46
	v_add_u32_e32 v4, 1, v1
	v_sub_u32_e32 v3, v15, v3
	v_subrev_u32_e32 v5, s46, v3
	v_cmp_le_u32_e32 vcc, s46, v3
	v_cndmask_b32_e32 v3, v3, v5, vcc
	v_cndmask_b32_e32 v1, v1, v4, vcc
	v_add_u32_e32 v4, 1, v1
	v_cmp_le_u32_e32 vcc, s46, v3
	v_cndmask_b32_e32 v1, v1, v4, vcc
	v_mov_b32_e32 v6, v2
	v_mov_b32_e32 v5, v1
.LBB0_7:                                ;   in Loop: Header=BB0_3 Depth=1
	s_or_b64 exec, exec, s[2:3]
	v_mul_lo_u32 v1, v6, s46
	v_mul_lo_u32 v6, v5, s45
	v_mad_u64_u32 v[3:4], s[2:3], v5, s46, 0
	v_add3_u32 v1, v4, v6, v1
	v_sub_co_u32_e32 v3, vcc, v15, v3
	v_subb_co_u32_e32 v1, vcc, v8, v1, vcc
	v_mul_lo_u32 v1, v1, s48
	v_mul_lo_u32 v6, v3, s47
	v_mad_u64_u32 v[3:4], s[2:3], v3, s48, 0
	v_add3_u32 v4, v4, v6, v1
	v_or_b32_e32 v7, s45, v4
	v_mov_b32_e32 v6, v2
	v_cmp_ne_u64_e32 vcc, 0, v[6:7]
                                        ; implicit-def: $vgpr6_vgpr7
	s_and_saveexec_b64 s[2:3], vcc
	s_xor_b64 s[4:5], exec, s[2:3]
	s_cbranch_execz .LBB0_9
; %bb.8:                                ;   in Loop: Header=BB0_3 Depth=1
	s_add_u32 s2, s46, s24
	s_mov_b32 s25, s24
	s_addc_u32 s3, s45, s24
	s_xor_b64 s[6:7], s[2:3], s[24:25]
	v_cvt_f32_u32_e32 v1, s6
	v_cvt_f32_u32_e32 v6, s7
	s_sub_u32 s8, 0, s6
	s_subb_u32 s9, 0, s7
	v_mac_f32_e32 v1, 0x4f800000, v6
	v_rcp_f32_e32 v1, v1
	v_mul_f32_e32 v1, 0x5f7ffffc, v1
	v_mul_f32_e32 v6, 0x2f800000, v1
	v_trunc_f32_e32 v6, v6
	v_mac_f32_e32 v1, 0xcf800000, v6
	v_cvt_u32_f32_e32 v6, v6
	v_cvt_u32_f32_e32 v1, v1
	v_readfirstlane_b32 s23, v6
	v_readfirstlane_b32 s2, v1
	s_mul_i32 s3, s8, s23
	s_mul_hi_u32 s26, s8, s2
	s_mul_i32 s25, s9, s2
	s_add_i32 s3, s26, s3
	s_add_i32 s3, s3, s25
	s_mul_i32 s27, s8, s2
	s_mul_i32 s26, s2, s3
	s_mul_hi_u32 s28, s2, s27
	s_mul_hi_u32 s25, s2, s3
	s_add_u32 s26, s28, s26
	s_addc_u32 s25, 0, s25
	s_mul_hi_u32 s29, s23, s27
	s_mul_i32 s27, s23, s27
	s_add_u32 s26, s26, s27
	s_mul_hi_u32 s28, s23, s3
	s_addc_u32 s25, s25, s29
	s_addc_u32 s26, s28, 0
	s_mul_i32 s3, s23, s3
	s_add_u32 s3, s25, s3
	s_addc_u32 s25, 0, s26
	s_add_u32 s26, s2, s3
	s_cselect_b64 s[2:3], -1, 0
	s_cmp_lg_u64 s[2:3], 0
	s_addc_u32 s23, s23, s25
	s_mul_i32 s2, s8, s23
	s_mul_hi_u32 s3, s8, s26
	s_add_i32 s2, s3, s2
	s_mul_i32 s9, s9, s26
	s_add_i32 s2, s2, s9
	s_mul_i32 s8, s8, s26
	s_mul_hi_u32 s9, s23, s8
	s_mul_i32 s25, s23, s8
	s_mul_i32 s28, s26, s2
	s_mul_hi_u32 s8, s26, s8
	s_mul_hi_u32 s27, s26, s2
	s_add_u32 s8, s8, s28
	s_addc_u32 s27, 0, s27
	s_add_u32 s8, s8, s25
	s_mul_hi_u32 s3, s23, s2
	s_addc_u32 s8, s27, s9
	s_addc_u32 s3, s3, 0
	s_mul_i32 s2, s23, s2
	s_add_u32 s2, s8, s2
	s_addc_u32 s8, 0, s3
	s_add_u32 s9, s26, s2
	s_cselect_b64 s[2:3], -1, 0
	v_ashrrev_i32_e32 v1, 31, v4
	s_cmp_lg_u64 s[2:3], 0
	v_add_co_u32_e32 v3, vcc, v3, v1
	s_addc_u32 s8, s23, s8
	v_xor_b32_e32 v9, v3, v1
	v_addc_co_u32_e32 v6, vcc, v4, v1, vcc
	v_mad_u64_u32 v[3:4], s[2:3], v9, s8, 0
	v_mul_hi_u32 v7, v9, s9
	v_xor_b32_e32 v10, v6, v1
	v_xor_b32_e32 v1, s24, v1
	v_add_co_u32_e32 v11, vcc, v7, v3
	v_addc_co_u32_e32 v12, vcc, 0, v4, vcc
	v_mad_u64_u32 v[3:4], s[2:3], v10, s9, 0
	v_mad_u64_u32 v[6:7], s[2:3], v10, s8, 0
	v_add_co_u32_e32 v3, vcc, v11, v3
	v_addc_co_u32_e32 v3, vcc, v12, v4, vcc
	v_addc_co_u32_e32 v4, vcc, 0, v7, vcc
	v_add_co_u32_e32 v6, vcc, v3, v6
	v_addc_co_u32_e32 v7, vcc, 0, v4, vcc
	v_mul_lo_u32 v11, s7, v6
	v_mul_lo_u32 v12, s6, v7
	v_mad_u64_u32 v[3:4], s[2:3], s6, v6, 0
	v_add3_u32 v4, v4, v12, v11
	v_sub_u32_e32 v11, v10, v4
	v_mov_b32_e32 v12, s7
	v_sub_co_u32_e32 v3, vcc, v9, v3
	v_subb_co_u32_e64 v9, s[2:3], v11, v12, vcc
	v_subrev_co_u32_e64 v11, s[2:3], s6, v3
	v_subbrev_co_u32_e64 v9, s[2:3], 0, v9, s[2:3]
	v_cmp_le_u32_e64 s[2:3], s7, v9
	v_cndmask_b32_e64 v12, 0, -1, s[2:3]
	v_cmp_le_u32_e64 s[2:3], s6, v11
	v_cndmask_b32_e64 v11, 0, -1, s[2:3]
	v_cmp_eq_u32_e64 s[2:3], s7, v9
	v_cndmask_b32_e64 v9, v12, v11, s[2:3]
	v_add_co_u32_e64 v11, s[2:3], 2, v6
	v_subb_co_u32_e32 v4, vcc, v10, v4, vcc
	v_addc_co_u32_e64 v12, s[2:3], 0, v7, s[2:3]
	v_cmp_le_u32_e32 vcc, s7, v4
	v_add_co_u32_e64 v13, s[2:3], 1, v6
	v_cndmask_b32_e64 v10, 0, -1, vcc
	v_cmp_le_u32_e32 vcc, s6, v3
	v_addc_co_u32_e64 v14, s[2:3], 0, v7, s[2:3]
	v_cndmask_b32_e64 v3, 0, -1, vcc
	v_cmp_eq_u32_e32 vcc, s7, v4
	v_cmp_ne_u32_e64 s[2:3], 0, v9
	v_cndmask_b32_e32 v3, v10, v3, vcc
	v_cmp_ne_u32_e32 vcc, 0, v3
	v_cndmask_b32_e64 v4, v13, v11, s[2:3]
	v_cndmask_b32_e64 v9, v14, v12, s[2:3]
	v_cndmask_b32_e32 v4, v6, v4, vcc
	v_cndmask_b32_e32 v3, v7, v9, vcc
	v_xor_b32_e32 v4, v4, v1
	v_xor_b32_e32 v3, v3, v1
	v_sub_co_u32_e32 v6, vcc, v4, v1
	v_subb_co_u32_e32 v7, vcc, v3, v1, vcc
                                        ; implicit-def: $vgpr3_vgpr4
.LBB0_9:                                ;   in Loop: Header=BB0_3 Depth=1
	s_andn2_saveexec_b64 s[2:3], s[4:5]
	s_cbranch_execz .LBB0_11
; %bb.10:                               ;   in Loop: Header=BB0_3 Depth=1
	v_mul_hi_u32 v1, v3, v17
	v_mul_lo_u32 v4, v1, s46
	v_add_u32_e32 v6, 1, v1
	v_sub_u32_e32 v3, v3, v4
	v_subrev_u32_e32 v4, s46, v3
	v_cmp_le_u32_e32 vcc, s46, v3
	v_cndmask_b32_e32 v3, v3, v4, vcc
	v_cndmask_b32_e32 v1, v1, v6, vcc
	v_add_u32_e32 v4, 1, v1
	v_cmp_le_u32_e32 vcc, s46, v3
	v_cndmask_b32_e32 v1, v1, v4, vcc
	v_mov_b32_e32 v7, v2
	v_mov_b32_e32 v6, v1
.LBB0_11:                               ;   in Loop: Header=BB0_3 Depth=1
	s_or_b64 exec, exec, s[2:3]
	v_add_co_u32_e32 v1, vcc, 1, v15
	v_addc_co_u32_e32 v3, vcc, 0, v8, vcc
	v_mul_lo_u32 v8, v1, s47
	v_mul_lo_u32 v9, v3, s48
	v_mad_u64_u32 v[3:4], s[2:3], v1, s48, -1
	v_add3_u32 v4, v9, v4, v8
	v_or_b32_e32 v9, s45, v4
	v_mov_b32_e32 v8, v2
	v_cmp_ne_u64_e32 vcc, 0, v[8:9]
                                        ; implicit-def: $vgpr8_vgpr9
	s_and_saveexec_b64 s[2:3], vcc
	s_xor_b64 s[4:5], exec, s[2:3]
	s_cbranch_execnz .LBB0_14
; %bb.12:                               ;   in Loop: Header=BB0_3 Depth=1
	s_andn2_saveexec_b64 s[2:3], s[4:5]
	s_cbranch_execnz .LBB0_15
.LBB0_13:                               ;   in Loop: Header=BB0_3 Depth=1
	s_or_b64 exec, exec, s[2:3]
	s_and_saveexec_b64 s[26:27], s[0:1]
	s_cbranch_execz .LBB0_2
	s_branch .LBB0_16
.LBB0_14:                               ;   in Loop: Header=BB0_3 Depth=1
	s_add_u32 s2, s46, s24
	s_mov_b32 s25, s24
	s_addc_u32 s3, s45, s24
	s_xor_b64 s[6:7], s[2:3], s[24:25]
	v_cvt_f32_u32_e32 v1, s6
	v_cvt_f32_u32_e32 v8, s7
	s_sub_u32 s8, 0, s6
	s_subb_u32 s9, 0, s7
	v_mac_f32_e32 v1, 0x4f800000, v8
	v_rcp_f32_e32 v1, v1
	v_mul_f32_e32 v1, 0x5f7ffffc, v1
	v_mul_f32_e32 v8, 0x2f800000, v1
	v_trunc_f32_e32 v8, v8
	v_mac_f32_e32 v1, 0xcf800000, v8
	v_cvt_u32_f32_e32 v8, v8
	v_cvt_u32_f32_e32 v1, v1
	v_readfirstlane_b32 s23, v8
	v_readfirstlane_b32 s2, v1
	s_mul_i32 s3, s8, s23
	s_mul_hi_u32 s26, s8, s2
	s_mul_i32 s25, s9, s2
	s_add_i32 s3, s26, s3
	s_add_i32 s3, s3, s25
	s_mul_i32 s27, s8, s2
	s_mul_i32 s26, s2, s3
	s_mul_hi_u32 s28, s2, s27
	s_mul_hi_u32 s25, s2, s3
	s_add_u32 s26, s28, s26
	s_addc_u32 s25, 0, s25
	s_mul_hi_u32 s29, s23, s27
	s_mul_i32 s27, s23, s27
	s_add_u32 s26, s26, s27
	s_mul_hi_u32 s28, s23, s3
	s_addc_u32 s25, s25, s29
	s_addc_u32 s26, s28, 0
	s_mul_i32 s3, s23, s3
	s_add_u32 s3, s25, s3
	s_addc_u32 s25, 0, s26
	s_add_u32 s26, s2, s3
	s_cselect_b64 s[2:3], -1, 0
	s_cmp_lg_u64 s[2:3], 0
	s_addc_u32 s23, s23, s25
	s_mul_i32 s2, s8, s23
	s_mul_hi_u32 s3, s8, s26
	s_add_i32 s2, s3, s2
	s_mul_i32 s9, s9, s26
	s_add_i32 s2, s2, s9
	s_mul_i32 s8, s8, s26
	s_mul_hi_u32 s9, s23, s8
	s_mul_i32 s25, s23, s8
	s_mul_i32 s28, s26, s2
	s_mul_hi_u32 s8, s26, s8
	s_mul_hi_u32 s27, s26, s2
	s_add_u32 s8, s8, s28
	s_addc_u32 s27, 0, s27
	s_add_u32 s8, s8, s25
	s_mul_hi_u32 s3, s23, s2
	s_addc_u32 s8, s27, s9
	s_addc_u32 s3, s3, 0
	s_mul_i32 s2, s23, s2
	s_add_u32 s2, s8, s2
	s_addc_u32 s8, 0, s3
	s_add_u32 s9, s26, s2
	s_cselect_b64 s[2:3], -1, 0
	v_ashrrev_i32_e32 v1, 31, v4
	s_cmp_lg_u64 s[2:3], 0
	v_add_co_u32_e32 v3, vcc, v3, v1
	s_addc_u32 s8, s23, s8
	v_xor_b32_e32 v10, v3, v1
	v_addc_co_u32_e32 v8, vcc, v4, v1, vcc
	v_mad_u64_u32 v[3:4], s[2:3], v10, s8, 0
	v_mul_hi_u32 v9, v10, s9
	v_xor_b32_e32 v11, v8, v1
	v_xor_b32_e32 v1, s24, v1
	v_add_co_u32_e32 v12, vcc, v9, v3
	v_addc_co_u32_e32 v13, vcc, 0, v4, vcc
	v_mad_u64_u32 v[3:4], s[2:3], v11, s9, 0
	v_mad_u64_u32 v[8:9], s[2:3], v11, s8, 0
	v_add_co_u32_e32 v3, vcc, v12, v3
	v_addc_co_u32_e32 v3, vcc, v13, v4, vcc
	v_addc_co_u32_e32 v4, vcc, 0, v9, vcc
	v_add_co_u32_e32 v8, vcc, v3, v8
	v_addc_co_u32_e32 v3, vcc, 0, v4, vcc
	v_mul_lo_u32 v9, s7, v8
	v_mul_lo_u32 v12, s6, v3
	v_mad_u64_u32 v[3:4], s[2:3], s6, v8, 0
	v_add3_u32 v4, v4, v12, v9
	v_sub_u32_e32 v9, v11, v4
	v_mov_b32_e32 v12, s7
	v_sub_co_u32_e32 v3, vcc, v10, v3
	v_subb_co_u32_e64 v9, s[2:3], v9, v12, vcc
	v_subrev_co_u32_e64 v10, s[2:3], s6, v3
	v_subbrev_co_u32_e64 v9, s[2:3], 0, v9, s[2:3]
	v_cmp_le_u32_e64 s[2:3], s7, v9
	v_subb_co_u32_e32 v4, vcc, v11, v4, vcc
	v_cndmask_b32_e64 v12, 0, -1, s[2:3]
	v_cmp_le_u32_e64 s[2:3], s6, v10
	v_cmp_le_u32_e32 vcc, s7, v4
	v_cndmask_b32_e64 v10, 0, -1, s[2:3]
	v_cmp_eq_u32_e64 s[2:3], s7, v9
	v_cndmask_b32_e64 v11, 0, -1, vcc
	v_cmp_le_u32_e32 vcc, s6, v3
	v_cndmask_b32_e64 v9, v12, v10, s[2:3]
	v_cndmask_b32_e64 v3, 0, -1, vcc
	v_cmp_eq_u32_e32 vcc, s7, v4
	v_add_co_u32_e64 v10, s[2:3], 2, v8
	v_add_co_u32_e64 v12, s[2:3], 1, v8
	v_cndmask_b32_e32 v3, v11, v3, vcc
	v_cmp_ne_u32_e32 vcc, 0, v9
	v_cndmask_b32_e32 v4, v12, v10, vcc
	v_cmp_ne_u32_e32 vcc, 0, v3
	v_cndmask_b32_e32 v3, v8, v4, vcc
	v_xor_b32_e32 v3, v3, v1
	v_sub_co_u32_e32 v8, vcc, v3, v1
                                        ; implicit-def: $vgpr3_vgpr4
	s_andn2_saveexec_b64 s[2:3], s[4:5]
	s_cbranch_execz .LBB0_13
.LBB0_15:                               ;   in Loop: Header=BB0_3 Depth=1
	v_mul_hi_u32 v1, v3, v17
	v_mul_lo_u32 v4, v1, s46
	v_add_u32_e32 v8, 1, v1
	v_sub_u32_e32 v3, v3, v4
	v_subrev_u32_e32 v4, s46, v3
	v_cmp_le_u32_e32 vcc, s46, v3
	v_cndmask_b32_e32 v3, v3, v4, vcc
	v_cndmask_b32_e32 v1, v1, v8, vcc
	v_add_u32_e32 v4, 1, v1
	v_cmp_le_u32_e32 vcc, s46, v3
	v_cndmask_b32_e32 v8, v1, v4, vcc
	s_or_b64 exec, exec, s[2:3]
	s_and_saveexec_b64 s[26:27], s[0:1]
	s_cbranch_execz .LBB0_2
.LBB0_16:                               ;   in Loop: Header=BB0_3 Depth=1
	v_mad_u64_u32 v[3:4], s[2:3], v5, s48, v[6:7]
	v_mul_lo_u32 v7, v15, s15
	s_mov_b64 s[28:29], 0
	v_sub_u32_e32 v1, v8, v3
	v_add_u32_e32 v18, 1, v1
	v_ashrrev_i32_e32 v8, 31, v7
	v_lshlrev_b64 v[7:8], 3, v[7:8]
	v_mov_b32_e32 v1, s42
	v_add_co_u32_e32 v19, vcc, s41, v7
	v_addc_co_u32_e32 v20, vcc, v1, v8, vcc
	v_mov_b32_e32 v1, s44
	v_add_co_u32_e32 v21, vcc, s43, v7
	v_addc_co_u32_e32 v22, vcc, v1, v8, vcc
	v_mov_b32_e32 v7, s10
	v_ashrrev_i32_e32 v4, 31, v3
	v_mov_b32_e32 v8, s11
	v_mul_lo_u32 v23, s13, v3
	v_mul_lo_u32 v1, s16, v4
	;; [unrolled: 1-line block ×3, first 2 shown]
	v_mad_u64_u32 v[3:4], s[2:3], s16, v3, v[7:8]
	v_mad_u64_u32 v[5:6], s[4:5], s12, v5, v[6:7]
	v_cmp_lt_i32_e64 s[2:3], 0, v18
	v_add3_u32 v4, v9, v4, v1
	v_mov_b32_e32 v1, v0
	s_branch .LBB0_19
.LBB0_17:                               ;   in Loop: Header=BB0_19 Depth=2
	s_or_b64 exec, exec, s[34:35]
.LBB0_18:                               ;   in Loop: Header=BB0_19 Depth=2
	s_or_b64 exec, exec, s[30:31]
	v_lshlrev_b64 v[6:7], 3, v[1:2]
	v_add_u32_e32 v1, s33, v1
	v_add_co_u32_e32 v11, vcc, v19, v6
	v_addc_co_u32_e32 v12, vcc, v20, v7, vcc
	v_add_co_u32_e32 v6, vcc, v21, v6
	v_addc_co_u32_e32 v7, vcc, v22, v7, vcc
	v_cmp_le_i32_e32 vcc, s15, v1
	global_store_dwordx2 v[11:12], v[9:10], off
	v_ashrrev_i32_e32 v9, 31, v8
	s_or_b64 s[28:29], vcc, s[28:29]
	global_store_dwordx2 v[6:7], v[8:9], off
	s_andn2_b64 exec, exec, s[28:29]
	s_cbranch_execz .LBB0_2
.LBB0_19:                               ;   Parent Loop BB0_3 Depth=1
                                        ; =>  This Loop Header: Depth=2
                                        ;       Child Loop BB0_34 Depth 3
                                        ;         Child Loop BB0_36 Depth 4
	s_mov_b32 s23, s49
	s_cmp_lg_u64 s[22:23], 0
	s_cselect_b64 s[4:5], -1, 0
                                        ; implicit-def: $vgpr6_vgpr7
	s_and_saveexec_b64 s[6:7], s[4:5]
	s_xor_b64 s[6:7], exec, s[6:7]
	s_cbranch_execz .LBB0_21
; %bb.20:                               ;   in Loop: Header=BB0_19 Depth=2
	s_ashr_i32 s8, s49, 31
	s_add_u32 s4, s53, s8
	s_mov_b32 s9, s8
	s_addc_u32 s5, s49, s8
	s_xor_b64 s[30:31], s[4:5], s[8:9]
	v_cvt_f32_u32_e32 v6, s30
	v_cvt_f32_u32_e32 v7, s31
	s_sub_u32 s9, 0, s30
	s_subb_u32 s23, 0, s31
	v_add_co_u32_e32 v10, vcc, 0, v1
	v_mac_f32_e32 v6, 0x4f800000, v7
	v_rcp_f32_e32 v6, v6
	v_mul_f32_e32 v6, 0x5f7ffffc, v6
	v_mul_f32_e32 v7, 0x2f800000, v6
	v_trunc_f32_e32 v7, v7
	v_mac_f32_e32 v6, 0xcf800000, v7
	v_cvt_u32_f32_e32 v7, v7
	v_cvt_u32_f32_e32 v6, v6
	v_readfirstlane_b32 s25, v7
	v_readfirstlane_b32 s4, v6
	s_mul_i32 s5, s9, s25
	s_mul_hi_u32 s35, s9, s4
	s_mul_i32 s34, s23, s4
	s_add_i32 s5, s35, s5
	s_add_i32 s5, s5, s34
	s_mul_i32 s36, s9, s4
	s_mul_i32 s35, s4, s5
	s_mul_hi_u32 s37, s4, s36
	s_mul_hi_u32 s34, s4, s5
	s_add_u32 s35, s37, s35
	s_addc_u32 s34, 0, s34
	s_mul_hi_u32 s38, s25, s36
	s_mul_i32 s36, s25, s36
	s_add_u32 s35, s35, s36
	s_mul_hi_u32 s37, s25, s5
	s_addc_u32 s34, s34, s38
	s_addc_u32 s35, s37, 0
	s_mul_i32 s5, s25, s5
	s_add_u32 s5, s34, s5
	s_addc_u32 s34, 0, s35
	s_add_u32 s35, s4, s5
	s_cselect_b64 s[4:5], -1, 0
	s_cmp_lg_u64 s[4:5], 0
	s_addc_u32 s25, s25, s34
	s_mul_i32 s4, s9, s25
	s_mul_hi_u32 s5, s9, s35
	s_add_i32 s4, s5, s4
	s_mul_i32 s23, s23, s35
	s_add_i32 s4, s4, s23
	s_mul_i32 s9, s9, s35
	s_mul_hi_u32 s23, s25, s9
	s_mul_i32 s34, s25, s9
	s_mul_i32 s37, s35, s4
	s_mul_hi_u32 s9, s35, s9
	s_mul_hi_u32 s36, s35, s4
	s_add_u32 s9, s9, s37
	s_addc_u32 s36, 0, s36
	s_add_u32 s9, s9, s34
	s_mul_hi_u32 s5, s25, s4
	s_addc_u32 s9, s36, s23
	s_addc_u32 s5, s5, 0
	s_mul_i32 s4, s25, s4
	s_add_u32 s4, s9, s4
	s_addc_u32 s9, 0, s5
	s_add_u32 s23, s35, s4
	s_cselect_b64 s[4:5], -1, 0
	s_cmp_lg_u64 s[4:5], 0
	s_addc_u32 s9, s25, s9
	v_mad_u64_u32 v[6:7], s[4:5], v10, s9, 0
	v_mul_hi_u32 v8, v10, s23
	v_addc_co_u32_e64 v11, s[4:5], 0, 0, vcc
	v_add_co_u32_e32 v12, vcc, v8, v6
	v_addc_co_u32_e32 v13, vcc, 0, v7, vcc
	v_mad_u64_u32 v[6:7], s[4:5], v11, s23, 0
	v_mad_u64_u32 v[8:9], s[4:5], v11, s9, 0
	v_add_co_u32_e32 v6, vcc, v12, v6
	v_addc_co_u32_e32 v6, vcc, v13, v7, vcc
	v_addc_co_u32_e32 v7, vcc, 0, v9, vcc
	v_add_co_u32_e32 v8, vcc, v6, v8
	v_addc_co_u32_e32 v9, vcc, 0, v7, vcc
	v_mul_lo_u32 v12, s31, v8
	v_mul_lo_u32 v13, s30, v9
	v_mad_u64_u32 v[6:7], s[4:5], s30, v8, 0
	v_add3_u32 v7, v7, v13, v12
	v_sub_u32_e32 v12, v11, v7
	v_mov_b32_e32 v13, s31
	v_sub_co_u32_e32 v6, vcc, v10, v6
	v_subb_co_u32_e64 v10, s[4:5], v12, v13, vcc
	v_subrev_co_u32_e64 v12, s[4:5], s30, v6
	v_subbrev_co_u32_e64 v10, s[4:5], 0, v10, s[4:5]
	v_cmp_le_u32_e64 s[4:5], s31, v10
	v_cndmask_b32_e64 v13, 0, -1, s[4:5]
	v_cmp_le_u32_e64 s[4:5], s30, v12
	v_cndmask_b32_e64 v12, 0, -1, s[4:5]
	v_cmp_eq_u32_e64 s[4:5], s31, v10
	v_cndmask_b32_e64 v10, v13, v12, s[4:5]
	v_add_co_u32_e64 v12, s[4:5], 2, v8
	v_subb_co_u32_e32 v7, vcc, v11, v7, vcc
	v_addc_co_u32_e64 v13, s[4:5], 0, v9, s[4:5]
	v_cmp_le_u32_e32 vcc, s31, v7
	v_add_co_u32_e64 v14, s[4:5], 1, v8
	v_cndmask_b32_e64 v11, 0, -1, vcc
	v_cmp_le_u32_e32 vcc, s30, v6
	v_addc_co_u32_e64 v24, s[4:5], 0, v9, s[4:5]
	v_cndmask_b32_e64 v6, 0, -1, vcc
	v_cmp_eq_u32_e32 vcc, s31, v7
	v_cmp_ne_u32_e64 s[4:5], 0, v10
	v_cndmask_b32_e32 v6, v11, v6, vcc
	v_cndmask_b32_e64 v10, v24, v13, s[4:5]
	v_cmp_ne_u32_e32 vcc, 0, v6
	v_cndmask_b32_e64 v7, v14, v12, s[4:5]
	v_cndmask_b32_e32 v6, v9, v10, vcc
	v_cndmask_b32_e32 v7, v8, v7, vcc
	v_xor_b32_e32 v8, s8, v6
	v_xor_b32_e32 v6, s8, v7
	v_mov_b32_e32 v7, s8
	v_subrev_co_u32_e32 v6, vcc, s8, v6
	v_subb_co_u32_e32 v7, vcc, v8, v7, vcc
.LBB0_21:                               ;   in Loop: Header=BB0_19 Depth=2
	s_or_saveexec_b64 s[4:5], s[6:7]
	v_cvt_f32_u32_e32 v13, s53
	s_xor_b64 exec, exec, s[4:5]
	s_cbranch_execz .LBB0_23
; %bb.22:                               ;   in Loop: Header=BB0_19 Depth=2
	v_rcp_iflag_f32_e32 v6, v13
	s_sub_i32 s6, 0, s53
	v_mul_f32_e32 v6, 0x4f7ffffe, v6
	v_cvt_u32_f32_e32 v6, v6
	v_mul_lo_u32 v7, s6, v6
	v_mul_hi_u32 v7, v6, v7
	v_add_u32_e32 v6, v6, v7
	v_mul_hi_u32 v6, v1, v6
	v_mul_lo_u32 v7, v6, s53
	v_add_u32_e32 v8, 1, v6
	v_sub_u32_e32 v7, v1, v7
	v_subrev_u32_e32 v9, s53, v7
	v_cmp_le_u32_e32 vcc, s53, v7
	v_cndmask_b32_e32 v7, v7, v9, vcc
	v_cndmask_b32_e32 v6, v6, v8, vcc
	v_add_u32_e32 v8, 1, v6
	v_cmp_le_u32_e32 vcc, s53, v7
	v_cndmask_b32_e32 v6, v6, v8, vcc
	v_mov_b32_e32 v7, v2
.LBB0_23:                               ;   in Loop: Header=BB0_19 Depth=2
	s_or_b64 exec, exec, s[4:5]
	v_mul_lo_u32 v9, v7, s53
	v_mul_lo_u32 v10, v6, s49
	v_mad_u64_u32 v[7:8], s[4:5], v6, s53, 0
	v_add3_u32 v8, v8, v10, v9
	v_sub_co_u32_e32 v7, vcc, v1, v7
	v_subb_co_u32_e32 v8, vcc, 0, v8, vcc
	v_mul_lo_u32 v8, v8, s54
	v_mul_lo_u32 v11, v7, s50
	v_mad_u64_u32 v[9:10], s[4:5], v7, s54, 0
	v_mov_b32_e32 v7, v2
	v_add3_u32 v10, v10, v11, v8
	v_or_b32_e32 v8, s49, v10
	v_cmp_ne_u64_e32 vcc, 0, v[7:8]
                                        ; implicit-def: $vgpr7_vgpr8
	s_and_saveexec_b64 s[4:5], vcc
	s_xor_b64 s[6:7], exec, s[4:5]
	s_cbranch_execz .LBB0_25
; %bb.24:                               ;   in Loop: Header=BB0_19 Depth=2
	s_ashr_i32 s8, s49, 31
	s_add_u32 s4, s53, s8
	s_mov_b32 s9, s8
	s_addc_u32 s5, s49, s8
	s_xor_b64 s[30:31], s[4:5], s[8:9]
	v_cvt_f32_u32_e32 v7, s30
	v_cvt_f32_u32_e32 v8, s31
	s_sub_u32 s9, 0, s30
	s_subb_u32 s23, 0, s31
	v_ashrrev_i32_e32 v11, 31, v10
	v_mac_f32_e32 v7, 0x4f800000, v8
	v_rcp_f32_e32 v7, v7
	v_mul_f32_e32 v7, 0x5f7ffffc, v7
	v_mul_f32_e32 v8, 0x2f800000, v7
	v_trunc_f32_e32 v8, v8
	v_mac_f32_e32 v7, 0xcf800000, v8
	v_cvt_u32_f32_e32 v8, v8
	v_cvt_u32_f32_e32 v7, v7
	v_readfirstlane_b32 s25, v8
	v_readfirstlane_b32 s4, v7
	s_mul_i32 s5, s9, s25
	s_mul_hi_u32 s35, s9, s4
	s_mul_i32 s34, s23, s4
	s_add_i32 s5, s35, s5
	s_add_i32 s5, s5, s34
	s_mul_i32 s36, s9, s4
	s_mul_i32 s35, s4, s5
	s_mul_hi_u32 s37, s4, s36
	s_mul_hi_u32 s34, s4, s5
	s_add_u32 s35, s37, s35
	s_addc_u32 s34, 0, s34
	s_mul_hi_u32 s38, s25, s36
	s_mul_i32 s36, s25, s36
	s_add_u32 s35, s35, s36
	s_mul_hi_u32 s37, s25, s5
	s_addc_u32 s34, s34, s38
	s_addc_u32 s35, s37, 0
	s_mul_i32 s5, s25, s5
	s_add_u32 s5, s34, s5
	s_addc_u32 s34, 0, s35
	s_add_u32 s35, s4, s5
	s_cselect_b64 s[4:5], -1, 0
	s_cmp_lg_u64 s[4:5], 0
	s_addc_u32 s25, s25, s34
	s_mul_i32 s4, s9, s25
	s_mul_hi_u32 s5, s9, s35
	s_add_i32 s4, s5, s4
	s_mul_i32 s23, s23, s35
	s_add_i32 s4, s4, s23
	s_mul_i32 s9, s9, s35
	s_mul_hi_u32 s23, s25, s9
	s_mul_i32 s34, s25, s9
	s_mul_i32 s37, s35, s4
	s_mul_hi_u32 s9, s35, s9
	s_mul_hi_u32 s36, s35, s4
	s_add_u32 s9, s9, s37
	s_addc_u32 s36, 0, s36
	s_add_u32 s9, s9, s34
	s_mul_hi_u32 s5, s25, s4
	s_addc_u32 s9, s36, s23
	s_addc_u32 s5, s5, 0
	s_mul_i32 s4, s25, s4
	s_add_u32 s4, s9, s4
	s_addc_u32 s9, 0, s5
	s_add_u32 s23, s35, s4
	s_cselect_b64 s[4:5], -1, 0
	s_cmp_lg_u64 s[4:5], 0
	v_add_co_u32_e32 v7, vcc, v9, v11
	s_addc_u32 s9, s25, s9
	v_xor_b32_e32 v12, v7, v11
	v_addc_co_u32_e32 v9, vcc, v10, v11, vcc
	v_mad_u64_u32 v[7:8], s[4:5], v12, s9, 0
	v_mul_hi_u32 v10, v12, s23
	v_xor_b32_e32 v14, v9, v11
	v_add_co_u32_e32 v24, vcc, v10, v7
	v_addc_co_u32_e32 v25, vcc, 0, v8, vcc
	v_mad_u64_u32 v[7:8], s[4:5], v14, s23, 0
	v_mad_u64_u32 v[9:10], s[4:5], v14, s9, 0
	v_add_co_u32_e32 v7, vcc, v24, v7
	v_addc_co_u32_e32 v7, vcc, v25, v8, vcc
	v_addc_co_u32_e32 v8, vcc, 0, v10, vcc
	v_add_co_u32_e32 v9, vcc, v7, v9
	v_addc_co_u32_e32 v10, vcc, 0, v8, vcc
	v_mul_lo_u32 v24, s31, v9
	v_mul_lo_u32 v25, s30, v10
	v_mad_u64_u32 v[7:8], s[4:5], s30, v9, 0
	v_add3_u32 v8, v8, v25, v24
	v_sub_u32_e32 v24, v14, v8
	v_mov_b32_e32 v25, s31
	v_sub_co_u32_e32 v7, vcc, v12, v7
	v_subb_co_u32_e64 v12, s[4:5], v24, v25, vcc
	v_subrev_co_u32_e64 v24, s[4:5], s30, v7
	v_subbrev_co_u32_e64 v12, s[4:5], 0, v12, s[4:5]
	v_cmp_le_u32_e64 s[4:5], s31, v12
	v_cndmask_b32_e64 v25, 0, -1, s[4:5]
	v_cmp_le_u32_e64 s[4:5], s30, v24
	v_cndmask_b32_e64 v24, 0, -1, s[4:5]
	v_cmp_eq_u32_e64 s[4:5], s31, v12
	v_cndmask_b32_e64 v12, v25, v24, s[4:5]
	v_add_co_u32_e64 v24, s[4:5], 2, v9
	v_subb_co_u32_e32 v8, vcc, v14, v8, vcc
	v_addc_co_u32_e64 v25, s[4:5], 0, v10, s[4:5]
	v_cmp_le_u32_e32 vcc, s31, v8
	v_add_co_u32_e64 v26, s[4:5], 1, v9
	v_cndmask_b32_e64 v14, 0, -1, vcc
	v_cmp_le_u32_e32 vcc, s30, v7
	v_addc_co_u32_e64 v27, s[4:5], 0, v10, s[4:5]
	v_cndmask_b32_e64 v7, 0, -1, vcc
	v_cmp_eq_u32_e32 vcc, s31, v8
	v_cmp_ne_u32_e64 s[4:5], 0, v12
	v_cndmask_b32_e32 v7, v14, v7, vcc
	v_cndmask_b32_e64 v12, v27, v25, s[4:5]
	v_cmp_ne_u32_e32 vcc, 0, v7
	v_cndmask_b32_e64 v8, v26, v24, s[4:5]
	v_cndmask_b32_e32 v7, v10, v12, vcc
	v_cndmask_b32_e32 v8, v9, v8, vcc
	v_xor_b32_e32 v9, s8, v11
	v_xor_b32_e32 v10, v7, v9
	;; [unrolled: 1-line block ×3, first 2 shown]
	v_sub_co_u32_e32 v7, vcc, v7, v9
	v_subb_co_u32_e32 v8, vcc, v10, v9, vcc
                                        ; implicit-def: $vgpr9_vgpr10
.LBB0_25:                               ;   in Loop: Header=BB0_19 Depth=2
	s_andn2_saveexec_b64 s[4:5], s[6:7]
	s_cbranch_execz .LBB0_27
; %bb.26:                               ;   in Loop: Header=BB0_19 Depth=2
	v_rcp_iflag_f32_e32 v7, v13
	s_sub_i32 s6, 0, s53
	v_mul_f32_e32 v7, 0x4f7ffffe, v7
	v_cvt_u32_f32_e32 v7, v7
	v_mul_lo_u32 v8, s6, v7
	v_mul_hi_u32 v8, v7, v8
	v_add_u32_e32 v7, v7, v8
	v_mul_hi_u32 v7, v9, v7
	v_mul_lo_u32 v8, v7, s53
	v_add_u32_e32 v10, 1, v7
	v_sub_u32_e32 v8, v9, v8
	v_subrev_u32_e32 v9, s53, v8
	v_cmp_le_u32_e32 vcc, s53, v8
	v_cndmask_b32_e32 v8, v8, v9, vcc
	v_cndmask_b32_e32 v7, v7, v10, vcc
	v_add_u32_e32 v9, 1, v7
	v_cmp_le_u32_e32 vcc, s53, v8
	v_cndmask_b32_e32 v7, v7, v9, vcc
	v_mov_b32_e32 v8, v2
.LBB0_27:                               ;   in Loop: Header=BB0_19 Depth=2
	s_or_b64 exec, exec, s[4:5]
	v_add_u32_e32 v11, 1, v1
	v_mad_u64_u32 v[9:10], s[4:5], v11, s54, -1
	v_mad_u64_u32 v[10:11], s[4:5], v11, s50, v[10:11]
	v_mov_b32_e32 v11, v2
	v_or_b32_e32 v12, s49, v10
	v_cmp_ne_u64_e32 vcc, 0, v[11:12]
                                        ; implicit-def: $vgpr11_vgpr12
	s_and_saveexec_b64 s[4:5], vcc
	s_xor_b64 s[6:7], exec, s[4:5]
	s_cbranch_execz .LBB0_29
; %bb.28:                               ;   in Loop: Header=BB0_19 Depth=2
	s_ashr_i32 s8, s49, 31
	s_add_u32 s4, s53, s8
	s_mov_b32 s9, s8
	s_addc_u32 s5, s49, s8
	s_xor_b64 s[30:31], s[4:5], s[8:9]
	v_cvt_f32_u32_e32 v11, s30
	v_cvt_f32_u32_e32 v12, s31
	s_sub_u32 s9, 0, s30
	s_subb_u32 s23, 0, s31
	v_ashrrev_i32_e32 v13, 31, v10
	v_mac_f32_e32 v11, 0x4f800000, v12
	v_rcp_f32_e32 v11, v11
	v_add_co_u32_e32 v9, vcc, v9, v13
	v_xor_b32_e32 v14, v9, v13
	v_mul_f32_e32 v11, 0x5f7ffffc, v11
	v_mul_f32_e32 v12, 0x2f800000, v11
	v_trunc_f32_e32 v12, v12
	v_mac_f32_e32 v11, 0xcf800000, v12
	v_cvt_u32_f32_e32 v12, v12
	v_cvt_u32_f32_e32 v11, v11
	v_readfirstlane_b32 s25, v12
	v_readfirstlane_b32 s4, v11
	s_mul_i32 s5, s9, s25
	s_mul_hi_u32 s35, s9, s4
	s_mul_i32 s34, s23, s4
	s_add_i32 s5, s35, s5
	s_add_i32 s5, s5, s34
	s_mul_i32 s36, s9, s4
	s_mul_i32 s35, s4, s5
	s_mul_hi_u32 s37, s4, s36
	s_mul_hi_u32 s34, s4, s5
	s_add_u32 s35, s37, s35
	s_addc_u32 s34, 0, s34
	s_mul_hi_u32 s38, s25, s36
	s_mul_i32 s36, s25, s36
	s_add_u32 s35, s35, s36
	s_mul_hi_u32 s37, s25, s5
	s_addc_u32 s34, s34, s38
	s_addc_u32 s35, s37, 0
	s_mul_i32 s5, s25, s5
	s_add_u32 s5, s34, s5
	s_addc_u32 s34, 0, s35
	s_add_u32 s35, s4, s5
	s_cselect_b64 s[4:5], -1, 0
	s_cmp_lg_u64 s[4:5], 0
	s_addc_u32 s25, s25, s34
	s_mul_i32 s4, s9, s25
	s_mul_hi_u32 s5, s9, s35
	s_add_i32 s4, s5, s4
	s_mul_i32 s23, s23, s35
	s_add_i32 s4, s4, s23
	s_mul_i32 s9, s9, s35
	s_mul_hi_u32 s23, s25, s9
	s_mul_i32 s34, s25, s9
	s_mul_i32 s37, s35, s4
	s_mul_hi_u32 s9, s35, s9
	s_mul_hi_u32 s36, s35, s4
	s_add_u32 s9, s9, s37
	s_addc_u32 s36, 0, s36
	s_add_u32 s9, s9, s34
	s_mul_hi_u32 s5, s25, s4
	s_addc_u32 s9, s36, s23
	s_addc_u32 s5, s5, 0
	s_mul_i32 s4, s25, s4
	s_add_u32 s4, s9, s4
	s_addc_u32 s9, 0, s5
	s_add_u32 s23, s35, s4
	s_cselect_b64 s[4:5], -1, 0
	s_cmp_lg_u64 s[4:5], 0
	s_addc_u32 s9, s25, s9
	v_addc_co_u32_e32 v11, vcc, v10, v13, vcc
	v_mad_u64_u32 v[9:10], s[4:5], v14, s9, 0
	v_mul_hi_u32 v12, v14, s23
	v_xor_b32_e32 v24, v11, v13
	v_add_co_u32_e32 v25, vcc, v12, v9
	v_addc_co_u32_e32 v26, vcc, 0, v10, vcc
	v_mad_u64_u32 v[9:10], s[4:5], v24, s23, 0
	v_mad_u64_u32 v[11:12], s[4:5], v24, s9, 0
	v_add_co_u32_e32 v9, vcc, v25, v9
	v_addc_co_u32_e32 v9, vcc, v26, v10, vcc
	v_addc_co_u32_e32 v10, vcc, 0, v12, vcc
	v_add_co_u32_e32 v11, vcc, v9, v11
	v_addc_co_u32_e32 v9, vcc, 0, v10, vcc
	v_mul_lo_u32 v12, s31, v11
	v_mul_lo_u32 v25, s30, v9
	v_mad_u64_u32 v[9:10], s[4:5], s30, v11, 0
	v_add3_u32 v10, v10, v25, v12
	v_sub_u32_e32 v12, v24, v10
	v_mov_b32_e32 v25, s31
	v_sub_co_u32_e32 v9, vcc, v14, v9
	v_subb_co_u32_e64 v12, s[4:5], v12, v25, vcc
	v_subrev_co_u32_e64 v14, s[4:5], s30, v9
	v_subbrev_co_u32_e64 v12, s[4:5], 0, v12, s[4:5]
	v_cmp_le_u32_e64 s[4:5], s31, v12
	v_subb_co_u32_e32 v10, vcc, v24, v10, vcc
	v_cndmask_b32_e64 v25, 0, -1, s[4:5]
	v_cmp_le_u32_e64 s[4:5], s30, v14
	v_cmp_le_u32_e32 vcc, s31, v10
	v_cndmask_b32_e64 v14, 0, -1, s[4:5]
	v_cmp_eq_u32_e64 s[4:5], s31, v12
	v_cndmask_b32_e64 v24, 0, -1, vcc
	v_cmp_le_u32_e32 vcc, s30, v9
	v_cndmask_b32_e64 v12, v25, v14, s[4:5]
	v_cndmask_b32_e64 v9, 0, -1, vcc
	v_cmp_eq_u32_e32 vcc, s31, v10
	v_add_co_u32_e64 v14, s[4:5], 2, v11
	v_add_co_u32_e64 v25, s[4:5], 1, v11
	v_cndmask_b32_e32 v9, v24, v9, vcc
	v_cmp_ne_u32_e32 vcc, 0, v12
	v_cndmask_b32_e32 v10, v25, v14, vcc
	v_cmp_ne_u32_e32 vcc, 0, v9
	v_cndmask_b32_e32 v9, v11, v10, vcc
	v_xor_b32_e32 v10, s8, v13
	v_xor_b32_e32 v9, v9, v10
	v_sub_co_u32_e32 v11, vcc, v9, v10
                                        ; implicit-def: $vgpr13
                                        ; implicit-def: $vgpr9_vgpr10
.LBB0_29:                               ;   in Loop: Header=BB0_19 Depth=2
	s_andn2_saveexec_b64 s[4:5], s[6:7]
	s_cbranch_execz .LBB0_31
; %bb.30:                               ;   in Loop: Header=BB0_19 Depth=2
	v_rcp_iflag_f32_e32 v10, v13
	s_sub_i32 s6, 0, s53
	v_mul_f32_e32 v10, 0x4f7ffffe, v10
	v_cvt_u32_f32_e32 v10, v10
	v_mul_lo_u32 v11, s6, v10
	v_mul_hi_u32 v11, v10, v11
	v_add_u32_e32 v10, v10, v11
	v_mul_hi_u32 v10, v9, v10
	v_mul_lo_u32 v11, v10, s53
	v_add_u32_e32 v12, 1, v10
	v_sub_u32_e32 v9, v9, v11
	v_subrev_u32_e32 v11, s53, v9
	v_cmp_le_u32_e32 vcc, s53, v9
	v_cndmask_b32_e32 v9, v9, v11, vcc
	v_cndmask_b32_e32 v10, v10, v12, vcc
	v_add_u32_e32 v11, 1, v10
	v_cmp_le_u32_e32 vcc, s53, v9
	v_cndmask_b32_e32 v11, v10, v11, vcc
.LBB0_31:                               ;   in Loop: Header=BB0_19 Depth=2
	s_or_b64 exec, exec, s[4:5]
	v_mad_u64_u32 v[13:14], s[4:5], v6, s54, v[7:8]
	v_mov_b32_e32 v9, 0
	v_mov_b32_e32 v10, 0xfff00000
	v_add_u32_e32 v8, v23, v13
	s_and_saveexec_b64 s[30:31], s[2:3]
	s_cbranch_execz .LBB0_18
; %bb.32:                               ;   in Loop: Header=BB0_19 Depth=2
	v_sub_u32_e32 v9, v11, v13
	v_add_u32_e32 v24, 1, v9
	v_ashrrev_i32_e32 v9, 31, v13
	v_mad_u64_u32 v[11:12], s[4:5], s18, v13, v[3:4]
	v_mul_lo_u32 v10, s19, v13
	v_mul_lo_u32 v9, s18, v9
	v_add_u32_e32 v6, v5, v6
	v_mad_u64_u32 v[6:7], s[4:5], s13, v6, v[7:8]
	v_add3_u32 v12, v10, v12, v9
	v_mov_b32_e32 v9, 0
	s_mov_b32 s23, 0
	v_cmp_lt_i32_e32 vcc, 0, v24
	v_mov_b32_e32 v10, 0xfff00000
	s_mov_b64 s[34:35], 0
	s_branch .LBB0_34
.LBB0_33:                               ;   in Loop: Header=BB0_34 Depth=3
	s_or_b64 exec, exec, s[36:37]
	v_mov_b32_e32 v7, s17
	v_add_co_u32_e64 v11, s[4:5], s16, v11
	s_add_i32 s23, s23, 1
	v_addc_co_u32_e64 v12, s[4:5], v12, v7, s[4:5]
	v_cmp_ge_i32_e64 s[4:5], s23, v18
	s_or_b64 s[34:35], s[4:5], s[34:35]
	v_add_u32_e32 v6, s13, v6
	s_andn2_b64 exec, exec, s[34:35]
	s_cbranch_execz .LBB0_17
.LBB0_34:                               ;   Parent Loop BB0_3 Depth=1
                                        ;     Parent Loop BB0_19 Depth=2
                                        ; =>    This Loop Header: Depth=3
                                        ;         Child Loop BB0_36 Depth 4
	s_and_saveexec_b64 s[36:37], vcc
	s_cbranch_execz .LBB0_33
; %bb.35:                               ;   in Loop: Header=BB0_34 Depth=3
	v_mov_b32_e32 v14, v12
	s_mov_b32 s25, 0
	s_mov_b64 s[38:39], 0
	v_mov_b32_e32 v13, v11
.LBB0_36:                               ;   Parent Loop BB0_3 Depth=1
                                        ;     Parent Loop BB0_19 Depth=2
                                        ;       Parent Loop BB0_34 Depth=3
                                        ; =>      This Inner Loop Header: Depth=4
	global_load_dwordx2 v[25:26], v[13:14], off
	v_mov_b32_e32 v27, s19
	v_add_co_u32_e64 v13, s[8:9], s18, v13
	v_add_u32_e32 v7, s25, v6
	s_add_i32 s25, s25, 1
	v_addc_co_u32_e64 v14, s[8:9], v14, v27, s[8:9]
	v_cmp_ge_i32_e64 s[8:9], s25, v24
	s_waitcnt vmcnt(0)
	v_cmp_gt_f64_e64 s[4:5], v[25:26], v[9:10]
	v_cmp_u_f64_e64 s[6:7], v[25:26], v[25:26]
	s_or_b64 s[4:5], s[4:5], s[6:7]
	v_cndmask_b32_e64 v8, v8, v7, s[4:5]
	v_cndmask_b32_e64 v10, v10, v26, s[4:5]
	s_or_b64 s[38:39], s[8:9], s[38:39]
	v_cndmask_b32_e64 v9, v9, v25, s[4:5]
	s_andn2_b64 exec, exec, s[38:39]
	s_cbranch_execnz .LBB0_36
; %bb.37:                               ;   in Loop: Header=BB0_34 Depth=3
	s_or_b64 exec, exec, s[38:39]
	s_branch .LBB0_33
.LBB0_38:
	s_endpgm
	.section	.rodata,"a",@progbits
	.p2align	6, 0x0
	.amdhsa_kernel _ZN2at6native12_GLOBAL__N_115adaptivemaxpoolIdEEvPKT_PS3_Pliiiilll
		.amdhsa_group_segment_fixed_size 0
		.amdhsa_private_segment_fixed_size 0
		.amdhsa_kernarg_size 320
		.amdhsa_user_sgpr_count 6
		.amdhsa_user_sgpr_private_segment_buffer 1
		.amdhsa_user_sgpr_dispatch_ptr 0
		.amdhsa_user_sgpr_queue_ptr 0
		.amdhsa_user_sgpr_kernarg_segment_ptr 1
		.amdhsa_user_sgpr_dispatch_id 0
		.amdhsa_user_sgpr_flat_scratch_init 0
		.amdhsa_user_sgpr_private_segment_size 0
		.amdhsa_uses_dynamic_stack 0
		.amdhsa_system_sgpr_private_segment_wavefront_offset 0
		.amdhsa_system_sgpr_workgroup_id_x 1
		.amdhsa_system_sgpr_workgroup_id_y 1
		.amdhsa_system_sgpr_workgroup_id_z 0
		.amdhsa_system_sgpr_workgroup_info 0
		.amdhsa_system_vgpr_workitem_id 1
		.amdhsa_next_free_vgpr 28
		.amdhsa_next_free_sgpr 55
		.amdhsa_reserve_vcc 1
		.amdhsa_reserve_flat_scratch 0
		.amdhsa_float_round_mode_32 0
		.amdhsa_float_round_mode_16_64 0
		.amdhsa_float_denorm_mode_32 3
		.amdhsa_float_denorm_mode_16_64 3
		.amdhsa_dx10_clamp 1
		.amdhsa_ieee_mode 1
		.amdhsa_fp16_overflow 0
		.amdhsa_exception_fp_ieee_invalid_op 0
		.amdhsa_exception_fp_denorm_src 0
		.amdhsa_exception_fp_ieee_div_zero 0
		.amdhsa_exception_fp_ieee_overflow 0
		.amdhsa_exception_fp_ieee_underflow 0
		.amdhsa_exception_fp_ieee_inexact 0
		.amdhsa_exception_int_div_zero 0
	.end_amdhsa_kernel
	.section	.text._ZN2at6native12_GLOBAL__N_115adaptivemaxpoolIdEEvPKT_PS3_Pliiiilll,"axG",@progbits,_ZN2at6native12_GLOBAL__N_115adaptivemaxpoolIdEEvPKT_PS3_Pliiiilll,comdat
.Lfunc_end0:
	.size	_ZN2at6native12_GLOBAL__N_115adaptivemaxpoolIdEEvPKT_PS3_Pliiiilll, .Lfunc_end0-_ZN2at6native12_GLOBAL__N_115adaptivemaxpoolIdEEvPKT_PS3_Pliiiilll
                                        ; -- End function
	.set _ZN2at6native12_GLOBAL__N_115adaptivemaxpoolIdEEvPKT_PS3_Pliiiilll.num_vgpr, 28
	.set _ZN2at6native12_GLOBAL__N_115adaptivemaxpoolIdEEvPKT_PS3_Pliiiilll.num_agpr, 0
	.set _ZN2at6native12_GLOBAL__N_115adaptivemaxpoolIdEEvPKT_PS3_Pliiiilll.numbered_sgpr, 55
	.set _ZN2at6native12_GLOBAL__N_115adaptivemaxpoolIdEEvPKT_PS3_Pliiiilll.num_named_barrier, 0
	.set _ZN2at6native12_GLOBAL__N_115adaptivemaxpoolIdEEvPKT_PS3_Pliiiilll.private_seg_size, 0
	.set _ZN2at6native12_GLOBAL__N_115adaptivemaxpoolIdEEvPKT_PS3_Pliiiilll.uses_vcc, 1
	.set _ZN2at6native12_GLOBAL__N_115adaptivemaxpoolIdEEvPKT_PS3_Pliiiilll.uses_flat_scratch, 0
	.set _ZN2at6native12_GLOBAL__N_115adaptivemaxpoolIdEEvPKT_PS3_Pliiiilll.has_dyn_sized_stack, 0
	.set _ZN2at6native12_GLOBAL__N_115adaptivemaxpoolIdEEvPKT_PS3_Pliiiilll.has_recursion, 0
	.set _ZN2at6native12_GLOBAL__N_115adaptivemaxpoolIdEEvPKT_PS3_Pliiiilll.has_indirect_call, 0
	.section	.AMDGPU.csdata,"",@progbits
; Kernel info:
; codeLenInByte = 4808
; TotalNumSgprs: 59
; NumVgprs: 28
; ScratchSize: 0
; MemoryBound: 0
; FloatMode: 240
; IeeeMode: 1
; LDSByteSize: 0 bytes/workgroup (compile time only)
; SGPRBlocks: 7
; VGPRBlocks: 6
; NumSGPRsForWavesPerEU: 59
; NumVGPRsForWavesPerEU: 28
; Occupancy: 9
; WaveLimiterHint : 0
; COMPUTE_PGM_RSRC2:SCRATCH_EN: 0
; COMPUTE_PGM_RSRC2:USER_SGPR: 6
; COMPUTE_PGM_RSRC2:TRAP_HANDLER: 0
; COMPUTE_PGM_RSRC2:TGID_X_EN: 1
; COMPUTE_PGM_RSRC2:TGID_Y_EN: 1
; COMPUTE_PGM_RSRC2:TGID_Z_EN: 0
; COMPUTE_PGM_RSRC2:TIDIG_COMP_CNT: 1
	.section	.text._ZN2at6native12_GLOBAL__N_115adaptivemaxpoolIfEEvPKT_PS3_Pliiiilll,"axG",@progbits,_ZN2at6native12_GLOBAL__N_115adaptivemaxpoolIfEEvPKT_PS3_Pliiiilll,comdat
	.globl	_ZN2at6native12_GLOBAL__N_115adaptivemaxpoolIfEEvPKT_PS3_Pliiiilll ; -- Begin function _ZN2at6native12_GLOBAL__N_115adaptivemaxpoolIfEEvPKT_PS3_Pliiiilll
	.p2align	8
	.type	_ZN2at6native12_GLOBAL__N_115adaptivemaxpoolIfEEvPKT_PS3_Pliiiilll,@function
_ZN2at6native12_GLOBAL__N_115adaptivemaxpoolIfEEvPKT_PS3_Pliiiilll: ; @_ZN2at6native12_GLOBAL__N_115adaptivemaxpoolIfEEvPKT_PS3_Pliiiilll
; %bb.0:
	s_load_dword s10, s[4:5], 0x4c
	s_load_dwordx4 s[12:15], s[4:5], 0x18
	s_add_u32 s8, s4, 64
	s_addc_u32 s9, s5, 0
	s_waitcnt lgkmcnt(0)
	s_lshr_b32 s11, s10, 16
	s_mul_i32 s7, s7, s11
	v_add_u32_e32 v14, s7, v1
	v_cmp_gt_i32_e32 vcc, s14, v14
	s_and_saveexec_b64 s[0:1], vcc
	s_cbranch_execz .LBB1_38
; %bb.1:
	s_load_dword s40, s[8:9], 0x4
	s_load_dwordx4 s[16:19], s[4:5], 0x0
	s_load_dwordx2 s[20:21], s[4:5], 0x10
	s_load_dwordx4 s[0:3], s[4:5], 0x28
	s_load_dwordx2 s[22:23], s[4:5], 0x38
	s_mul_i32 s4, s14, s6
	s_mul_i32 s4, s4, s15
	s_ashr_i32 s5, s4, 31
	s_and_b32 s33, s10, 0xffff
	s_lshl_b64 s[8:9], s[4:5], 2
	s_waitcnt lgkmcnt(0)
	s_add_u32 s41, s18, s8
	s_addc_u32 s42, s19, s9
	s_ashr_i32 s7, s6, 31
	s_lshl_b64 s[4:5], s[4:5], 3
	s_add_u32 s43, s20, s4
	s_addc_u32 s44, s21, s5
	s_mul_hi_u32 s4, s0, s6
	s_mul_i32 s5, s0, s7
	s_add_i32 s4, s4, s5
	s_mul_i32 s1, s1, s6
	s_add_i32 s1, s4, s1
	s_mul_i32 s0, s0, s6
	s_ashr_i32 s45, s14, 31
	s_ashr_i32 s47, s12, 31
	;; [unrolled: 1-line block ×4, first 2 shown]
	s_lshl_b64 s[0:1], s[0:1], 2
	s_add_u32 s10, s16, s0
	s_mul_i32 s40, s40, s11
	s_addc_u32 s11, s17, s1
	s_ashr_i32 s51, s14, 31
	s_add_i32 s0, s14, s51
	s_xor_b32 s52, s0, s51
	s_mov_b32 s46, s14
	v_cvt_f32_u32_e32 v1, s52
	v_cvt_f32_u32_e32 v2, s46
	s_lshl_b64 s[16:17], s[2:3], 2
	s_sub_i32 s2, 0, s52
	v_rcp_iflag_f32_e32 v1, v1
	v_rcp_iflag_f32_e32 v2, v2
	s_mov_b32 s48, s12
	v_cmp_gt_i32_e64 s[0:1], s15, v0
	v_mul_f32_e32 v1, 0x4f7ffffe, v1
	v_cvt_u32_f32_e32 v1, v1
	v_mul_f32_e32 v2, 0x4f7ffffe, v2
	v_cvt_u32_f32_e32 v3, v2
	s_mov_b32 s53, s15
	v_mul_lo_u32 v2, s2, v1
	s_sub_i32 s2, 0, s14
	v_mul_lo_u32 v4, s2, v3
	s_mov_b32 s54, s13
	v_mul_hi_u32 v5, v1, v2
	s_lshl_b64 s[18:19], s[22:23], 2
	v_mul_hi_u32 v4, v3, v4
	s_mov_b64 s[20:21], 0
	v_mov_b32_e32 v2, 0
	s_mov_b32 s22, 0
	v_add_u32_e32 v15, v1, v5
	v_add_u32_e32 v16, v3, v4
	s_ashr_i32 s24, s45, 31
	s_branch .LBB1_3
.LBB1_2:                                ;   in Loop: Header=BB1_3 Depth=1
	s_or_b64 exec, exec, s[26:27]
	v_add_u32_e32 v14, s40, v14
	v_cmp_le_i32_e32 vcc, s14, v14
	s_or_b64 s[20:21], vcc, s[20:21]
	s_andn2_b64 exec, exec, s[20:21]
	s_cbranch_execz .LBB1_38
.LBB1_3:                                ; =>This Loop Header: Depth=1
                                        ;     Child Loop BB1_19 Depth 2
                                        ;       Child Loop BB1_34 Depth 3
                                        ;         Child Loop BB1_36 Depth 4
	v_ashrrev_i32_e32 v8, 31, v14
	v_or_b32_e32 v4, s45, v8
	v_mov_b32_e32 v3, v2
	v_cmp_ne_u64_e32 vcc, 0, v[3:4]
                                        ; implicit-def: $vgpr5_vgpr6
	s_and_saveexec_b64 s[2:3], vcc
	s_xor_b64 s[2:3], exec, s[2:3]
	s_cbranch_execz .LBB1_5
; %bb.4:                                ;   in Loop: Header=BB1_3 Depth=1
	v_ashrrev_i32_e32 v1, 31, v14
	v_add_u32_e32 v3, v14, v1
	v_xor_b32_e32 v3, v3, v1
	v_mul_hi_u32 v4, v3, v15
	v_xor_b32_e32 v1, s51, v1
	v_mul_lo_u32 v5, v4, s52
	v_add_u32_e32 v6, 1, v4
	v_sub_u32_e32 v3, v3, v5
	v_subrev_u32_e32 v5, s52, v3
	v_cmp_le_u32_e32 vcc, s52, v3
	v_cndmask_b32_e32 v3, v3, v5, vcc
	v_cndmask_b32_e32 v4, v4, v6, vcc
	v_add_u32_e32 v5, 1, v4
	v_cmp_le_u32_e32 vcc, s52, v3
	v_cndmask_b32_e32 v3, v4, v5, vcc
	v_xor_b32_e32 v3, v3, v1
	v_sub_u32_e32 v5, v3, v1
	v_ashrrev_i32_e32 v6, 31, v5
.LBB1_5:                                ;   in Loop: Header=BB1_3 Depth=1
	s_andn2_saveexec_b64 s[2:3], s[2:3]
	s_cbranch_execz .LBB1_7
; %bb.6:                                ;   in Loop: Header=BB1_3 Depth=1
	v_mul_hi_u32 v1, v14, v16
	v_mul_lo_u32 v3, v1, s46
	v_add_u32_e32 v4, 1, v1
	v_sub_u32_e32 v3, v14, v3
	v_subrev_u32_e32 v5, s46, v3
	v_cmp_le_u32_e32 vcc, s46, v3
	v_cndmask_b32_e32 v3, v3, v5, vcc
	v_cndmask_b32_e32 v1, v1, v4, vcc
	v_add_u32_e32 v4, 1, v1
	v_cmp_le_u32_e32 vcc, s46, v3
	v_cndmask_b32_e32 v1, v1, v4, vcc
	v_mov_b32_e32 v6, v2
	v_mov_b32_e32 v5, v1
.LBB1_7:                                ;   in Loop: Header=BB1_3 Depth=1
	s_or_b64 exec, exec, s[2:3]
	v_mul_lo_u32 v1, v6, s46
	v_mul_lo_u32 v6, v5, s45
	v_mad_u64_u32 v[3:4], s[2:3], v5, s46, 0
	v_add3_u32 v1, v4, v6, v1
	v_sub_co_u32_e32 v3, vcc, v14, v3
	v_subb_co_u32_e32 v1, vcc, v8, v1, vcc
	v_mul_lo_u32 v1, v1, s48
	v_mul_lo_u32 v6, v3, s47
	v_mad_u64_u32 v[3:4], s[2:3], v3, s48, 0
	v_add3_u32 v4, v4, v6, v1
	v_or_b32_e32 v7, s45, v4
	v_mov_b32_e32 v6, v2
	v_cmp_ne_u64_e32 vcc, 0, v[6:7]
                                        ; implicit-def: $vgpr6_vgpr7
	s_and_saveexec_b64 s[2:3], vcc
	s_xor_b64 s[4:5], exec, s[2:3]
	s_cbranch_execz .LBB1_9
; %bb.8:                                ;   in Loop: Header=BB1_3 Depth=1
	s_add_u32 s2, s46, s24
	s_mov_b32 s25, s24
	s_addc_u32 s3, s45, s24
	s_xor_b64 s[6:7], s[2:3], s[24:25]
	v_cvt_f32_u32_e32 v1, s6
	v_cvt_f32_u32_e32 v6, s7
	s_sub_u32 s8, 0, s6
	s_subb_u32 s9, 0, s7
	v_mac_f32_e32 v1, 0x4f800000, v6
	v_rcp_f32_e32 v1, v1
	v_mul_f32_e32 v1, 0x5f7ffffc, v1
	v_mul_f32_e32 v6, 0x2f800000, v1
	v_trunc_f32_e32 v6, v6
	v_mac_f32_e32 v1, 0xcf800000, v6
	v_cvt_u32_f32_e32 v6, v6
	v_cvt_u32_f32_e32 v1, v1
	v_readfirstlane_b32 s23, v6
	v_readfirstlane_b32 s2, v1
	s_mul_i32 s3, s8, s23
	s_mul_hi_u32 s26, s8, s2
	s_mul_i32 s25, s9, s2
	s_add_i32 s3, s26, s3
	s_add_i32 s3, s3, s25
	s_mul_i32 s27, s8, s2
	s_mul_i32 s26, s2, s3
	s_mul_hi_u32 s28, s2, s27
	s_mul_hi_u32 s25, s2, s3
	s_add_u32 s26, s28, s26
	s_addc_u32 s25, 0, s25
	s_mul_hi_u32 s29, s23, s27
	s_mul_i32 s27, s23, s27
	s_add_u32 s26, s26, s27
	s_mul_hi_u32 s28, s23, s3
	s_addc_u32 s25, s25, s29
	s_addc_u32 s26, s28, 0
	s_mul_i32 s3, s23, s3
	s_add_u32 s3, s25, s3
	s_addc_u32 s25, 0, s26
	s_add_u32 s26, s2, s3
	s_cselect_b64 s[2:3], -1, 0
	s_cmp_lg_u64 s[2:3], 0
	s_addc_u32 s23, s23, s25
	s_mul_i32 s2, s8, s23
	s_mul_hi_u32 s3, s8, s26
	s_add_i32 s2, s3, s2
	s_mul_i32 s9, s9, s26
	s_add_i32 s2, s2, s9
	s_mul_i32 s8, s8, s26
	s_mul_hi_u32 s9, s23, s8
	s_mul_i32 s25, s23, s8
	s_mul_i32 s28, s26, s2
	s_mul_hi_u32 s8, s26, s8
	s_mul_hi_u32 s27, s26, s2
	s_add_u32 s8, s8, s28
	s_addc_u32 s27, 0, s27
	s_add_u32 s8, s8, s25
	s_mul_hi_u32 s3, s23, s2
	s_addc_u32 s8, s27, s9
	s_addc_u32 s3, s3, 0
	s_mul_i32 s2, s23, s2
	s_add_u32 s2, s8, s2
	s_addc_u32 s8, 0, s3
	s_add_u32 s9, s26, s2
	s_cselect_b64 s[2:3], -1, 0
	v_ashrrev_i32_e32 v1, 31, v4
	s_cmp_lg_u64 s[2:3], 0
	v_add_co_u32_e32 v3, vcc, v3, v1
	s_addc_u32 s8, s23, s8
	v_xor_b32_e32 v9, v3, v1
	v_addc_co_u32_e32 v6, vcc, v4, v1, vcc
	v_mad_u64_u32 v[3:4], s[2:3], v9, s8, 0
	v_mul_hi_u32 v7, v9, s9
	v_xor_b32_e32 v10, v6, v1
	v_xor_b32_e32 v1, s24, v1
	v_add_co_u32_e32 v11, vcc, v7, v3
	v_addc_co_u32_e32 v12, vcc, 0, v4, vcc
	v_mad_u64_u32 v[3:4], s[2:3], v10, s9, 0
	v_mad_u64_u32 v[6:7], s[2:3], v10, s8, 0
	v_add_co_u32_e32 v3, vcc, v11, v3
	v_addc_co_u32_e32 v3, vcc, v12, v4, vcc
	v_addc_co_u32_e32 v4, vcc, 0, v7, vcc
	v_add_co_u32_e32 v6, vcc, v3, v6
	v_addc_co_u32_e32 v7, vcc, 0, v4, vcc
	v_mul_lo_u32 v11, s7, v6
	v_mul_lo_u32 v12, s6, v7
	v_mad_u64_u32 v[3:4], s[2:3], s6, v6, 0
	v_add3_u32 v4, v4, v12, v11
	v_sub_u32_e32 v11, v10, v4
	v_mov_b32_e32 v12, s7
	v_sub_co_u32_e32 v3, vcc, v9, v3
	v_subb_co_u32_e64 v9, s[2:3], v11, v12, vcc
	v_subrev_co_u32_e64 v11, s[2:3], s6, v3
	v_subbrev_co_u32_e64 v9, s[2:3], 0, v9, s[2:3]
	v_cmp_le_u32_e64 s[2:3], s7, v9
	v_cndmask_b32_e64 v12, 0, -1, s[2:3]
	v_cmp_le_u32_e64 s[2:3], s6, v11
	v_cndmask_b32_e64 v11, 0, -1, s[2:3]
	v_cmp_eq_u32_e64 s[2:3], s7, v9
	v_cndmask_b32_e64 v9, v12, v11, s[2:3]
	v_add_co_u32_e64 v11, s[2:3], 2, v6
	v_subb_co_u32_e32 v4, vcc, v10, v4, vcc
	v_addc_co_u32_e64 v12, s[2:3], 0, v7, s[2:3]
	v_cmp_le_u32_e32 vcc, s7, v4
	v_add_co_u32_e64 v13, s[2:3], 1, v6
	v_cndmask_b32_e64 v10, 0, -1, vcc
	v_cmp_le_u32_e32 vcc, s6, v3
	v_addc_co_u32_e64 v17, s[2:3], 0, v7, s[2:3]
	v_cndmask_b32_e64 v3, 0, -1, vcc
	v_cmp_eq_u32_e32 vcc, s7, v4
	v_cmp_ne_u32_e64 s[2:3], 0, v9
	v_cndmask_b32_e32 v3, v10, v3, vcc
	v_cmp_ne_u32_e32 vcc, 0, v3
	v_cndmask_b32_e64 v4, v13, v11, s[2:3]
	v_cndmask_b32_e64 v9, v17, v12, s[2:3]
	v_cndmask_b32_e32 v4, v6, v4, vcc
	v_cndmask_b32_e32 v3, v7, v9, vcc
	v_xor_b32_e32 v4, v4, v1
	v_xor_b32_e32 v3, v3, v1
	v_sub_co_u32_e32 v6, vcc, v4, v1
	v_subb_co_u32_e32 v7, vcc, v3, v1, vcc
                                        ; implicit-def: $vgpr3_vgpr4
.LBB1_9:                                ;   in Loop: Header=BB1_3 Depth=1
	s_andn2_saveexec_b64 s[2:3], s[4:5]
	s_cbranch_execz .LBB1_11
; %bb.10:                               ;   in Loop: Header=BB1_3 Depth=1
	v_mul_hi_u32 v1, v3, v16
	v_mul_lo_u32 v4, v1, s46
	v_add_u32_e32 v6, 1, v1
	v_sub_u32_e32 v3, v3, v4
	v_subrev_u32_e32 v4, s46, v3
	v_cmp_le_u32_e32 vcc, s46, v3
	v_cndmask_b32_e32 v3, v3, v4, vcc
	v_cndmask_b32_e32 v1, v1, v6, vcc
	v_add_u32_e32 v4, 1, v1
	v_cmp_le_u32_e32 vcc, s46, v3
	v_cndmask_b32_e32 v1, v1, v4, vcc
	v_mov_b32_e32 v7, v2
	v_mov_b32_e32 v6, v1
.LBB1_11:                               ;   in Loop: Header=BB1_3 Depth=1
	s_or_b64 exec, exec, s[2:3]
	v_add_co_u32_e32 v1, vcc, 1, v14
	v_addc_co_u32_e32 v3, vcc, 0, v8, vcc
	v_mul_lo_u32 v8, v1, s47
	v_mul_lo_u32 v9, v3, s48
	v_mad_u64_u32 v[3:4], s[2:3], v1, s48, -1
	v_add3_u32 v4, v9, v4, v8
	v_or_b32_e32 v9, s45, v4
	v_mov_b32_e32 v8, v2
	v_cmp_ne_u64_e32 vcc, 0, v[8:9]
                                        ; implicit-def: $vgpr8_vgpr9
	s_and_saveexec_b64 s[2:3], vcc
	s_xor_b64 s[4:5], exec, s[2:3]
	s_cbranch_execnz .LBB1_14
; %bb.12:                               ;   in Loop: Header=BB1_3 Depth=1
	s_andn2_saveexec_b64 s[2:3], s[4:5]
	s_cbranch_execnz .LBB1_15
.LBB1_13:                               ;   in Loop: Header=BB1_3 Depth=1
	s_or_b64 exec, exec, s[2:3]
	s_and_saveexec_b64 s[26:27], s[0:1]
	s_cbranch_execz .LBB1_2
	s_branch .LBB1_16
.LBB1_14:                               ;   in Loop: Header=BB1_3 Depth=1
	s_add_u32 s2, s46, s24
	s_mov_b32 s25, s24
	s_addc_u32 s3, s45, s24
	s_xor_b64 s[6:7], s[2:3], s[24:25]
	v_cvt_f32_u32_e32 v1, s6
	v_cvt_f32_u32_e32 v8, s7
	s_sub_u32 s8, 0, s6
	s_subb_u32 s9, 0, s7
	v_mac_f32_e32 v1, 0x4f800000, v8
	v_rcp_f32_e32 v1, v1
	v_mul_f32_e32 v1, 0x5f7ffffc, v1
	v_mul_f32_e32 v8, 0x2f800000, v1
	v_trunc_f32_e32 v8, v8
	v_mac_f32_e32 v1, 0xcf800000, v8
	v_cvt_u32_f32_e32 v8, v8
	v_cvt_u32_f32_e32 v1, v1
	v_readfirstlane_b32 s23, v8
	v_readfirstlane_b32 s2, v1
	s_mul_i32 s3, s8, s23
	s_mul_hi_u32 s26, s8, s2
	s_mul_i32 s25, s9, s2
	s_add_i32 s3, s26, s3
	s_add_i32 s3, s3, s25
	s_mul_i32 s27, s8, s2
	s_mul_i32 s26, s2, s3
	s_mul_hi_u32 s28, s2, s27
	s_mul_hi_u32 s25, s2, s3
	s_add_u32 s26, s28, s26
	s_addc_u32 s25, 0, s25
	s_mul_hi_u32 s29, s23, s27
	s_mul_i32 s27, s23, s27
	s_add_u32 s26, s26, s27
	s_mul_hi_u32 s28, s23, s3
	s_addc_u32 s25, s25, s29
	s_addc_u32 s26, s28, 0
	s_mul_i32 s3, s23, s3
	s_add_u32 s3, s25, s3
	s_addc_u32 s25, 0, s26
	s_add_u32 s26, s2, s3
	s_cselect_b64 s[2:3], -1, 0
	s_cmp_lg_u64 s[2:3], 0
	s_addc_u32 s23, s23, s25
	s_mul_i32 s2, s8, s23
	s_mul_hi_u32 s3, s8, s26
	s_add_i32 s2, s3, s2
	s_mul_i32 s9, s9, s26
	s_add_i32 s2, s2, s9
	s_mul_i32 s8, s8, s26
	s_mul_hi_u32 s9, s23, s8
	s_mul_i32 s25, s23, s8
	s_mul_i32 s28, s26, s2
	s_mul_hi_u32 s8, s26, s8
	s_mul_hi_u32 s27, s26, s2
	s_add_u32 s8, s8, s28
	s_addc_u32 s27, 0, s27
	s_add_u32 s8, s8, s25
	s_mul_hi_u32 s3, s23, s2
	s_addc_u32 s8, s27, s9
	s_addc_u32 s3, s3, 0
	s_mul_i32 s2, s23, s2
	s_add_u32 s2, s8, s2
	s_addc_u32 s8, 0, s3
	s_add_u32 s9, s26, s2
	s_cselect_b64 s[2:3], -1, 0
	v_ashrrev_i32_e32 v1, 31, v4
	s_cmp_lg_u64 s[2:3], 0
	v_add_co_u32_e32 v3, vcc, v3, v1
	s_addc_u32 s8, s23, s8
	v_xor_b32_e32 v10, v3, v1
	v_addc_co_u32_e32 v8, vcc, v4, v1, vcc
	v_mad_u64_u32 v[3:4], s[2:3], v10, s8, 0
	v_mul_hi_u32 v9, v10, s9
	v_xor_b32_e32 v11, v8, v1
	v_xor_b32_e32 v1, s24, v1
	v_add_co_u32_e32 v12, vcc, v9, v3
	v_addc_co_u32_e32 v13, vcc, 0, v4, vcc
	v_mad_u64_u32 v[3:4], s[2:3], v11, s9, 0
	v_mad_u64_u32 v[8:9], s[2:3], v11, s8, 0
	v_add_co_u32_e32 v3, vcc, v12, v3
	v_addc_co_u32_e32 v3, vcc, v13, v4, vcc
	v_addc_co_u32_e32 v4, vcc, 0, v9, vcc
	v_add_co_u32_e32 v8, vcc, v3, v8
	v_addc_co_u32_e32 v3, vcc, 0, v4, vcc
	v_mul_lo_u32 v9, s7, v8
	v_mul_lo_u32 v12, s6, v3
	v_mad_u64_u32 v[3:4], s[2:3], s6, v8, 0
	v_add3_u32 v4, v4, v12, v9
	v_sub_u32_e32 v9, v11, v4
	v_mov_b32_e32 v12, s7
	v_sub_co_u32_e32 v3, vcc, v10, v3
	v_subb_co_u32_e64 v9, s[2:3], v9, v12, vcc
	v_subrev_co_u32_e64 v10, s[2:3], s6, v3
	v_subbrev_co_u32_e64 v9, s[2:3], 0, v9, s[2:3]
	v_cmp_le_u32_e64 s[2:3], s7, v9
	v_subb_co_u32_e32 v4, vcc, v11, v4, vcc
	v_cndmask_b32_e64 v12, 0, -1, s[2:3]
	v_cmp_le_u32_e64 s[2:3], s6, v10
	v_cmp_le_u32_e32 vcc, s7, v4
	v_cndmask_b32_e64 v10, 0, -1, s[2:3]
	v_cmp_eq_u32_e64 s[2:3], s7, v9
	v_cndmask_b32_e64 v11, 0, -1, vcc
	v_cmp_le_u32_e32 vcc, s6, v3
	v_cndmask_b32_e64 v9, v12, v10, s[2:3]
	v_cndmask_b32_e64 v3, 0, -1, vcc
	v_cmp_eq_u32_e32 vcc, s7, v4
	v_add_co_u32_e64 v10, s[2:3], 2, v8
	v_add_co_u32_e64 v12, s[2:3], 1, v8
	v_cndmask_b32_e32 v3, v11, v3, vcc
	v_cmp_ne_u32_e32 vcc, 0, v9
	v_cndmask_b32_e32 v4, v12, v10, vcc
	v_cmp_ne_u32_e32 vcc, 0, v3
	v_cndmask_b32_e32 v3, v8, v4, vcc
	v_xor_b32_e32 v3, v3, v1
	v_sub_co_u32_e32 v8, vcc, v3, v1
                                        ; implicit-def: $vgpr3_vgpr4
	s_andn2_saveexec_b64 s[2:3], s[4:5]
	s_cbranch_execz .LBB1_13
.LBB1_15:                               ;   in Loop: Header=BB1_3 Depth=1
	v_mul_hi_u32 v1, v3, v16
	v_mul_lo_u32 v4, v1, s46
	v_add_u32_e32 v8, 1, v1
	v_sub_u32_e32 v3, v3, v4
	v_subrev_u32_e32 v4, s46, v3
	v_cmp_le_u32_e32 vcc, s46, v3
	v_cndmask_b32_e32 v3, v3, v4, vcc
	v_cndmask_b32_e32 v1, v1, v8, vcc
	v_add_u32_e32 v4, 1, v1
	v_cmp_le_u32_e32 vcc, s46, v3
	v_cndmask_b32_e32 v8, v1, v4, vcc
	s_or_b64 exec, exec, s[2:3]
	s_and_saveexec_b64 s[26:27], s[0:1]
	s_cbranch_execz .LBB1_2
.LBB1_16:                               ;   in Loop: Header=BB1_3 Depth=1
	v_mad_u64_u32 v[3:4], s[2:3], v5, s48, v[6:7]
	v_mul_lo_u32 v7, v14, s15
	s_mov_b64 s[28:29], 0
	v_sub_u32_e32 v1, v8, v3
	v_add_u32_e32 v17, 1, v1
	v_ashrrev_i32_e32 v8, 31, v7
	v_lshlrev_b64 v[9:10], 2, v[7:8]
	v_mov_b32_e32 v1, s42
	v_add_co_u32_e32 v18, vcc, s41, v9
	v_lshlrev_b64 v[7:8], 3, v[7:8]
	v_addc_co_u32_e32 v19, vcc, v1, v10, vcc
	v_mov_b32_e32 v1, s44
	v_add_co_u32_e32 v20, vcc, s43, v7
	v_addc_co_u32_e32 v21, vcc, v1, v8, vcc
	v_mov_b32_e32 v7, s10
	v_ashrrev_i32_e32 v4, 31, v3
	v_mov_b32_e32 v8, s11
	v_mul_lo_u32 v22, s13, v3
	v_mul_lo_u32 v1, s16, v4
	;; [unrolled: 1-line block ×3, first 2 shown]
	v_mad_u64_u32 v[3:4], s[2:3], s16, v3, v[7:8]
	v_mad_u64_u32 v[5:6], s[4:5], s12, v5, v[6:7]
	v_cmp_lt_i32_e64 s[2:3], 0, v17
	v_add3_u32 v4, v9, v4, v1
	v_mov_b32_e32 v1, v0
	s_branch .LBB1_19
.LBB1_17:                               ;   in Loop: Header=BB1_19 Depth=2
	s_or_b64 exec, exec, s[34:35]
.LBB1_18:                               ;   in Loop: Header=BB1_19 Depth=2
	s_or_b64 exec, exec, s[30:31]
	v_lshlrev_b64 v[6:7], 2, v[1:2]
	v_lshlrev_b64 v[9:10], 3, v[1:2]
	v_add_co_u32_e32 v6, vcc, v18, v6
	v_addc_co_u32_e32 v7, vcc, v19, v7, vcc
	v_add_co_u32_e32 v11, vcc, v20, v9
	v_addc_co_u32_e32 v12, vcc, v21, v10, vcc
	v_add_u32_e32 v1, s33, v1
	v_cmp_le_i32_e32 vcc, s15, v1
	v_ashrrev_i32_e32 v9, 31, v8
	s_or_b64 s[28:29], vcc, s[28:29]
	global_store_dword v[6:7], v13, off
	global_store_dwordx2 v[11:12], v[8:9], off
	s_andn2_b64 exec, exec, s[28:29]
	s_cbranch_execz .LBB1_2
.LBB1_19:                               ;   Parent Loop BB1_3 Depth=1
                                        ; =>  This Loop Header: Depth=2
                                        ;       Child Loop BB1_34 Depth 3
                                        ;         Child Loop BB1_36 Depth 4
	s_mov_b32 s23, s49
	s_cmp_lg_u64 s[22:23], 0
	s_cselect_b64 s[4:5], -1, 0
                                        ; implicit-def: $vgpr6_vgpr7
	s_and_saveexec_b64 s[6:7], s[4:5]
	s_xor_b64 s[6:7], exec, s[6:7]
	s_cbranch_execz .LBB1_21
; %bb.20:                               ;   in Loop: Header=BB1_19 Depth=2
	s_ashr_i32 s8, s49, 31
	s_add_u32 s4, s53, s8
	s_mov_b32 s9, s8
	s_addc_u32 s5, s49, s8
	s_xor_b64 s[30:31], s[4:5], s[8:9]
	v_cvt_f32_u32_e32 v6, s30
	v_cvt_f32_u32_e32 v7, s31
	s_sub_u32 s9, 0, s30
	s_subb_u32 s23, 0, s31
	v_add_co_u32_e32 v10, vcc, 0, v1
	v_mac_f32_e32 v6, 0x4f800000, v7
	v_rcp_f32_e32 v6, v6
	v_mul_f32_e32 v6, 0x5f7ffffc, v6
	v_mul_f32_e32 v7, 0x2f800000, v6
	v_trunc_f32_e32 v7, v7
	v_mac_f32_e32 v6, 0xcf800000, v7
	v_cvt_u32_f32_e32 v7, v7
	v_cvt_u32_f32_e32 v6, v6
	v_readfirstlane_b32 s25, v7
	v_readfirstlane_b32 s4, v6
	s_mul_i32 s5, s9, s25
	s_mul_hi_u32 s35, s9, s4
	s_mul_i32 s34, s23, s4
	s_add_i32 s5, s35, s5
	s_add_i32 s5, s5, s34
	s_mul_i32 s36, s9, s4
	s_mul_i32 s35, s4, s5
	s_mul_hi_u32 s37, s4, s36
	s_mul_hi_u32 s34, s4, s5
	s_add_u32 s35, s37, s35
	s_addc_u32 s34, 0, s34
	s_mul_hi_u32 s38, s25, s36
	s_mul_i32 s36, s25, s36
	s_add_u32 s35, s35, s36
	s_mul_hi_u32 s37, s25, s5
	s_addc_u32 s34, s34, s38
	s_addc_u32 s35, s37, 0
	s_mul_i32 s5, s25, s5
	s_add_u32 s5, s34, s5
	s_addc_u32 s34, 0, s35
	s_add_u32 s35, s4, s5
	s_cselect_b64 s[4:5], -1, 0
	s_cmp_lg_u64 s[4:5], 0
	s_addc_u32 s25, s25, s34
	s_mul_i32 s4, s9, s25
	s_mul_hi_u32 s5, s9, s35
	s_add_i32 s4, s5, s4
	s_mul_i32 s23, s23, s35
	s_add_i32 s4, s4, s23
	s_mul_i32 s9, s9, s35
	s_mul_hi_u32 s23, s25, s9
	s_mul_i32 s34, s25, s9
	s_mul_i32 s37, s35, s4
	s_mul_hi_u32 s9, s35, s9
	s_mul_hi_u32 s36, s35, s4
	s_add_u32 s9, s9, s37
	s_addc_u32 s36, 0, s36
	s_add_u32 s9, s9, s34
	s_mul_hi_u32 s5, s25, s4
	s_addc_u32 s9, s36, s23
	s_addc_u32 s5, s5, 0
	s_mul_i32 s4, s25, s4
	s_add_u32 s4, s9, s4
	s_addc_u32 s9, 0, s5
	s_add_u32 s23, s35, s4
	s_cselect_b64 s[4:5], -1, 0
	s_cmp_lg_u64 s[4:5], 0
	s_addc_u32 s9, s25, s9
	v_mad_u64_u32 v[6:7], s[4:5], v10, s9, 0
	v_mul_hi_u32 v8, v10, s23
	v_addc_co_u32_e64 v11, s[4:5], 0, 0, vcc
	v_add_co_u32_e32 v12, vcc, v8, v6
	v_addc_co_u32_e32 v13, vcc, 0, v7, vcc
	v_mad_u64_u32 v[6:7], s[4:5], v11, s23, 0
	v_mad_u64_u32 v[8:9], s[4:5], v11, s9, 0
	v_add_co_u32_e32 v6, vcc, v12, v6
	v_addc_co_u32_e32 v6, vcc, v13, v7, vcc
	v_addc_co_u32_e32 v7, vcc, 0, v9, vcc
	v_add_co_u32_e32 v8, vcc, v6, v8
	v_addc_co_u32_e32 v9, vcc, 0, v7, vcc
	v_mul_lo_u32 v12, s31, v8
	v_mul_lo_u32 v13, s30, v9
	v_mad_u64_u32 v[6:7], s[4:5], s30, v8, 0
	v_add3_u32 v7, v7, v13, v12
	v_sub_u32_e32 v12, v11, v7
	v_mov_b32_e32 v13, s31
	v_sub_co_u32_e32 v6, vcc, v10, v6
	v_subb_co_u32_e64 v10, s[4:5], v12, v13, vcc
	v_subrev_co_u32_e64 v12, s[4:5], s30, v6
	v_subbrev_co_u32_e64 v10, s[4:5], 0, v10, s[4:5]
	v_cmp_le_u32_e64 s[4:5], s31, v10
	v_cndmask_b32_e64 v13, 0, -1, s[4:5]
	v_cmp_le_u32_e64 s[4:5], s30, v12
	v_cndmask_b32_e64 v12, 0, -1, s[4:5]
	v_cmp_eq_u32_e64 s[4:5], s31, v10
	v_cndmask_b32_e64 v10, v13, v12, s[4:5]
	v_add_co_u32_e64 v12, s[4:5], 2, v8
	v_subb_co_u32_e32 v7, vcc, v11, v7, vcc
	v_addc_co_u32_e64 v13, s[4:5], 0, v9, s[4:5]
	v_cmp_le_u32_e32 vcc, s31, v7
	v_add_co_u32_e64 v23, s[4:5], 1, v8
	v_cndmask_b32_e64 v11, 0, -1, vcc
	v_cmp_le_u32_e32 vcc, s30, v6
	v_addc_co_u32_e64 v24, s[4:5], 0, v9, s[4:5]
	v_cndmask_b32_e64 v6, 0, -1, vcc
	v_cmp_eq_u32_e32 vcc, s31, v7
	v_cmp_ne_u32_e64 s[4:5], 0, v10
	v_cndmask_b32_e32 v6, v11, v6, vcc
	v_cndmask_b32_e64 v10, v24, v13, s[4:5]
	v_cmp_ne_u32_e32 vcc, 0, v6
	v_cndmask_b32_e64 v7, v23, v12, s[4:5]
	v_cndmask_b32_e32 v6, v9, v10, vcc
	v_cndmask_b32_e32 v7, v8, v7, vcc
	v_xor_b32_e32 v8, s8, v6
	v_xor_b32_e32 v6, s8, v7
	v_mov_b32_e32 v7, s8
	v_subrev_co_u32_e32 v6, vcc, s8, v6
	v_subb_co_u32_e32 v7, vcc, v8, v7, vcc
.LBB1_21:                               ;   in Loop: Header=BB1_19 Depth=2
	s_or_saveexec_b64 s[4:5], s[6:7]
	v_cvt_f32_u32_e32 v13, s53
	s_xor_b64 exec, exec, s[4:5]
	s_cbranch_execz .LBB1_23
; %bb.22:                               ;   in Loop: Header=BB1_19 Depth=2
	v_rcp_iflag_f32_e32 v6, v13
	s_sub_i32 s6, 0, s53
	v_mul_f32_e32 v6, 0x4f7ffffe, v6
	v_cvt_u32_f32_e32 v6, v6
	v_mul_lo_u32 v7, s6, v6
	v_mul_hi_u32 v7, v6, v7
	v_add_u32_e32 v6, v6, v7
	v_mul_hi_u32 v6, v1, v6
	v_mul_lo_u32 v7, v6, s53
	v_add_u32_e32 v8, 1, v6
	v_sub_u32_e32 v7, v1, v7
	v_subrev_u32_e32 v9, s53, v7
	v_cmp_le_u32_e32 vcc, s53, v7
	v_cndmask_b32_e32 v7, v7, v9, vcc
	v_cndmask_b32_e32 v6, v6, v8, vcc
	v_add_u32_e32 v8, 1, v6
	v_cmp_le_u32_e32 vcc, s53, v7
	v_cndmask_b32_e32 v6, v6, v8, vcc
	v_mov_b32_e32 v7, v2
.LBB1_23:                               ;   in Loop: Header=BB1_19 Depth=2
	s_or_b64 exec, exec, s[4:5]
	v_mul_lo_u32 v9, v7, s53
	v_mul_lo_u32 v10, v6, s49
	v_mad_u64_u32 v[7:8], s[4:5], v6, s53, 0
	v_add3_u32 v8, v8, v10, v9
	v_sub_co_u32_e32 v7, vcc, v1, v7
	v_subb_co_u32_e32 v8, vcc, 0, v8, vcc
	v_mul_lo_u32 v8, v8, s54
	v_mul_lo_u32 v11, v7, s50
	v_mad_u64_u32 v[9:10], s[4:5], v7, s54, 0
	v_mov_b32_e32 v7, v2
	v_add3_u32 v10, v10, v11, v8
	v_or_b32_e32 v8, s49, v10
	v_cmp_ne_u64_e32 vcc, 0, v[7:8]
                                        ; implicit-def: $vgpr7_vgpr8
	s_and_saveexec_b64 s[4:5], vcc
	s_xor_b64 s[6:7], exec, s[4:5]
	s_cbranch_execz .LBB1_25
; %bb.24:                               ;   in Loop: Header=BB1_19 Depth=2
	s_ashr_i32 s8, s49, 31
	s_add_u32 s4, s53, s8
	s_mov_b32 s9, s8
	s_addc_u32 s5, s49, s8
	s_xor_b64 s[30:31], s[4:5], s[8:9]
	v_cvt_f32_u32_e32 v7, s30
	v_cvt_f32_u32_e32 v8, s31
	s_sub_u32 s9, 0, s30
	s_subb_u32 s23, 0, s31
	v_ashrrev_i32_e32 v11, 31, v10
	v_mac_f32_e32 v7, 0x4f800000, v8
	v_rcp_f32_e32 v7, v7
	v_mul_f32_e32 v7, 0x5f7ffffc, v7
	v_mul_f32_e32 v8, 0x2f800000, v7
	v_trunc_f32_e32 v8, v8
	v_mac_f32_e32 v7, 0xcf800000, v8
	v_cvt_u32_f32_e32 v8, v8
	v_cvt_u32_f32_e32 v7, v7
	v_readfirstlane_b32 s25, v8
	v_readfirstlane_b32 s4, v7
	s_mul_i32 s5, s9, s25
	s_mul_hi_u32 s35, s9, s4
	s_mul_i32 s34, s23, s4
	s_add_i32 s5, s35, s5
	s_add_i32 s5, s5, s34
	s_mul_i32 s36, s9, s4
	s_mul_i32 s35, s4, s5
	s_mul_hi_u32 s37, s4, s36
	s_mul_hi_u32 s34, s4, s5
	s_add_u32 s35, s37, s35
	s_addc_u32 s34, 0, s34
	s_mul_hi_u32 s38, s25, s36
	s_mul_i32 s36, s25, s36
	s_add_u32 s35, s35, s36
	s_mul_hi_u32 s37, s25, s5
	s_addc_u32 s34, s34, s38
	s_addc_u32 s35, s37, 0
	s_mul_i32 s5, s25, s5
	s_add_u32 s5, s34, s5
	s_addc_u32 s34, 0, s35
	s_add_u32 s35, s4, s5
	s_cselect_b64 s[4:5], -1, 0
	s_cmp_lg_u64 s[4:5], 0
	s_addc_u32 s25, s25, s34
	s_mul_i32 s4, s9, s25
	s_mul_hi_u32 s5, s9, s35
	s_add_i32 s4, s5, s4
	s_mul_i32 s23, s23, s35
	s_add_i32 s4, s4, s23
	s_mul_i32 s9, s9, s35
	s_mul_hi_u32 s23, s25, s9
	s_mul_i32 s34, s25, s9
	s_mul_i32 s37, s35, s4
	s_mul_hi_u32 s9, s35, s9
	s_mul_hi_u32 s36, s35, s4
	s_add_u32 s9, s9, s37
	s_addc_u32 s36, 0, s36
	s_add_u32 s9, s9, s34
	s_mul_hi_u32 s5, s25, s4
	s_addc_u32 s9, s36, s23
	s_addc_u32 s5, s5, 0
	s_mul_i32 s4, s25, s4
	s_add_u32 s4, s9, s4
	s_addc_u32 s9, 0, s5
	s_add_u32 s23, s35, s4
	s_cselect_b64 s[4:5], -1, 0
	s_cmp_lg_u64 s[4:5], 0
	v_add_co_u32_e32 v7, vcc, v9, v11
	s_addc_u32 s9, s25, s9
	v_xor_b32_e32 v12, v7, v11
	v_addc_co_u32_e32 v9, vcc, v10, v11, vcc
	v_mad_u64_u32 v[7:8], s[4:5], v12, s9, 0
	v_mul_hi_u32 v10, v12, s23
	v_xor_b32_e32 v23, v9, v11
	v_add_co_u32_e32 v24, vcc, v10, v7
	v_addc_co_u32_e32 v25, vcc, 0, v8, vcc
	v_mad_u64_u32 v[7:8], s[4:5], v23, s23, 0
	v_mad_u64_u32 v[9:10], s[4:5], v23, s9, 0
	v_add_co_u32_e32 v7, vcc, v24, v7
	v_addc_co_u32_e32 v7, vcc, v25, v8, vcc
	v_addc_co_u32_e32 v8, vcc, 0, v10, vcc
	v_add_co_u32_e32 v9, vcc, v7, v9
	v_addc_co_u32_e32 v10, vcc, 0, v8, vcc
	v_mul_lo_u32 v24, s31, v9
	v_mul_lo_u32 v25, s30, v10
	v_mad_u64_u32 v[7:8], s[4:5], s30, v9, 0
	v_add3_u32 v8, v8, v25, v24
	v_sub_u32_e32 v24, v23, v8
	v_mov_b32_e32 v25, s31
	v_sub_co_u32_e32 v7, vcc, v12, v7
	v_subb_co_u32_e64 v12, s[4:5], v24, v25, vcc
	v_subrev_co_u32_e64 v24, s[4:5], s30, v7
	v_subbrev_co_u32_e64 v12, s[4:5], 0, v12, s[4:5]
	v_cmp_le_u32_e64 s[4:5], s31, v12
	v_cndmask_b32_e64 v25, 0, -1, s[4:5]
	v_cmp_le_u32_e64 s[4:5], s30, v24
	v_cndmask_b32_e64 v24, 0, -1, s[4:5]
	v_cmp_eq_u32_e64 s[4:5], s31, v12
	v_cndmask_b32_e64 v12, v25, v24, s[4:5]
	v_add_co_u32_e64 v24, s[4:5], 2, v9
	v_subb_co_u32_e32 v8, vcc, v23, v8, vcc
	v_addc_co_u32_e64 v25, s[4:5], 0, v10, s[4:5]
	v_cmp_le_u32_e32 vcc, s31, v8
	v_add_co_u32_e64 v26, s[4:5], 1, v9
	v_cndmask_b32_e64 v23, 0, -1, vcc
	v_cmp_le_u32_e32 vcc, s30, v7
	v_addc_co_u32_e64 v27, s[4:5], 0, v10, s[4:5]
	v_cndmask_b32_e64 v7, 0, -1, vcc
	v_cmp_eq_u32_e32 vcc, s31, v8
	v_cmp_ne_u32_e64 s[4:5], 0, v12
	v_cndmask_b32_e32 v7, v23, v7, vcc
	v_cndmask_b32_e64 v12, v27, v25, s[4:5]
	v_cmp_ne_u32_e32 vcc, 0, v7
	v_cndmask_b32_e64 v8, v26, v24, s[4:5]
	v_cndmask_b32_e32 v7, v10, v12, vcc
	v_cndmask_b32_e32 v8, v9, v8, vcc
	v_xor_b32_e32 v9, s8, v11
	v_xor_b32_e32 v10, v7, v9
	;; [unrolled: 1-line block ×3, first 2 shown]
	v_sub_co_u32_e32 v7, vcc, v7, v9
	v_subb_co_u32_e32 v8, vcc, v10, v9, vcc
                                        ; implicit-def: $vgpr9_vgpr10
.LBB1_25:                               ;   in Loop: Header=BB1_19 Depth=2
	s_andn2_saveexec_b64 s[4:5], s[6:7]
	s_cbranch_execz .LBB1_27
; %bb.26:                               ;   in Loop: Header=BB1_19 Depth=2
	v_rcp_iflag_f32_e32 v7, v13
	s_sub_i32 s6, 0, s53
	v_mul_f32_e32 v7, 0x4f7ffffe, v7
	v_cvt_u32_f32_e32 v7, v7
	v_mul_lo_u32 v8, s6, v7
	v_mul_hi_u32 v8, v7, v8
	v_add_u32_e32 v7, v7, v8
	v_mul_hi_u32 v7, v9, v7
	v_mul_lo_u32 v8, v7, s53
	v_add_u32_e32 v10, 1, v7
	v_sub_u32_e32 v8, v9, v8
	v_subrev_u32_e32 v9, s53, v8
	v_cmp_le_u32_e32 vcc, s53, v8
	v_cndmask_b32_e32 v8, v8, v9, vcc
	v_cndmask_b32_e32 v7, v7, v10, vcc
	v_add_u32_e32 v9, 1, v7
	v_cmp_le_u32_e32 vcc, s53, v8
	v_cndmask_b32_e32 v7, v7, v9, vcc
	v_mov_b32_e32 v8, v2
.LBB1_27:                               ;   in Loop: Header=BB1_19 Depth=2
	s_or_b64 exec, exec, s[4:5]
	v_add_u32_e32 v11, 1, v1
	v_mad_u64_u32 v[9:10], s[4:5], v11, s54, -1
	v_mad_u64_u32 v[10:11], s[4:5], v11, s50, v[10:11]
	v_mov_b32_e32 v11, v2
	v_or_b32_e32 v12, s49, v10
	v_cmp_ne_u64_e32 vcc, 0, v[11:12]
                                        ; implicit-def: $vgpr11_vgpr12
	s_and_saveexec_b64 s[4:5], vcc
	s_xor_b64 s[6:7], exec, s[4:5]
	s_cbranch_execz .LBB1_29
; %bb.28:                               ;   in Loop: Header=BB1_19 Depth=2
	s_ashr_i32 s8, s49, 31
	s_add_u32 s4, s53, s8
	s_mov_b32 s9, s8
	s_addc_u32 s5, s49, s8
	s_xor_b64 s[30:31], s[4:5], s[8:9]
	v_cvt_f32_u32_e32 v11, s30
	v_cvt_f32_u32_e32 v12, s31
	s_sub_u32 s9, 0, s30
	s_subb_u32 s23, 0, s31
	v_ashrrev_i32_e32 v13, 31, v10
	v_mac_f32_e32 v11, 0x4f800000, v12
	v_rcp_f32_e32 v11, v11
	v_add_co_u32_e32 v9, vcc, v9, v13
	v_xor_b32_e32 v23, v9, v13
	v_mul_f32_e32 v11, 0x5f7ffffc, v11
	v_mul_f32_e32 v12, 0x2f800000, v11
	v_trunc_f32_e32 v12, v12
	v_mac_f32_e32 v11, 0xcf800000, v12
	v_cvt_u32_f32_e32 v12, v12
	v_cvt_u32_f32_e32 v11, v11
	v_readfirstlane_b32 s25, v12
	v_readfirstlane_b32 s4, v11
	s_mul_i32 s5, s9, s25
	s_mul_hi_u32 s35, s9, s4
	s_mul_i32 s34, s23, s4
	s_add_i32 s5, s35, s5
	s_add_i32 s5, s5, s34
	s_mul_i32 s36, s9, s4
	s_mul_i32 s35, s4, s5
	s_mul_hi_u32 s37, s4, s36
	s_mul_hi_u32 s34, s4, s5
	s_add_u32 s35, s37, s35
	s_addc_u32 s34, 0, s34
	s_mul_hi_u32 s38, s25, s36
	s_mul_i32 s36, s25, s36
	s_add_u32 s35, s35, s36
	s_mul_hi_u32 s37, s25, s5
	s_addc_u32 s34, s34, s38
	s_addc_u32 s35, s37, 0
	s_mul_i32 s5, s25, s5
	s_add_u32 s5, s34, s5
	s_addc_u32 s34, 0, s35
	s_add_u32 s35, s4, s5
	s_cselect_b64 s[4:5], -1, 0
	s_cmp_lg_u64 s[4:5], 0
	s_addc_u32 s25, s25, s34
	s_mul_i32 s4, s9, s25
	s_mul_hi_u32 s5, s9, s35
	s_add_i32 s4, s5, s4
	s_mul_i32 s23, s23, s35
	s_add_i32 s4, s4, s23
	s_mul_i32 s9, s9, s35
	s_mul_hi_u32 s23, s25, s9
	s_mul_i32 s34, s25, s9
	s_mul_i32 s37, s35, s4
	s_mul_hi_u32 s9, s35, s9
	s_mul_hi_u32 s36, s35, s4
	s_add_u32 s9, s9, s37
	s_addc_u32 s36, 0, s36
	s_add_u32 s9, s9, s34
	s_mul_hi_u32 s5, s25, s4
	s_addc_u32 s9, s36, s23
	s_addc_u32 s5, s5, 0
	s_mul_i32 s4, s25, s4
	s_add_u32 s4, s9, s4
	s_addc_u32 s9, 0, s5
	s_add_u32 s23, s35, s4
	s_cselect_b64 s[4:5], -1, 0
	s_cmp_lg_u64 s[4:5], 0
	s_addc_u32 s9, s25, s9
	v_addc_co_u32_e32 v11, vcc, v10, v13, vcc
	v_mad_u64_u32 v[9:10], s[4:5], v23, s9, 0
	v_mul_hi_u32 v12, v23, s23
	v_xor_b32_e32 v24, v11, v13
	v_add_co_u32_e32 v25, vcc, v12, v9
	v_addc_co_u32_e32 v26, vcc, 0, v10, vcc
	v_mad_u64_u32 v[9:10], s[4:5], v24, s23, 0
	v_mad_u64_u32 v[11:12], s[4:5], v24, s9, 0
	v_add_co_u32_e32 v9, vcc, v25, v9
	v_addc_co_u32_e32 v9, vcc, v26, v10, vcc
	v_addc_co_u32_e32 v10, vcc, 0, v12, vcc
	v_add_co_u32_e32 v11, vcc, v9, v11
	v_addc_co_u32_e32 v9, vcc, 0, v10, vcc
	v_mul_lo_u32 v12, s31, v11
	v_mul_lo_u32 v25, s30, v9
	v_mad_u64_u32 v[9:10], s[4:5], s30, v11, 0
	v_add3_u32 v10, v10, v25, v12
	v_sub_u32_e32 v12, v24, v10
	v_mov_b32_e32 v25, s31
	v_sub_co_u32_e32 v9, vcc, v23, v9
	v_subb_co_u32_e64 v12, s[4:5], v12, v25, vcc
	v_subrev_co_u32_e64 v23, s[4:5], s30, v9
	v_subbrev_co_u32_e64 v12, s[4:5], 0, v12, s[4:5]
	v_cmp_le_u32_e64 s[4:5], s31, v12
	v_subb_co_u32_e32 v10, vcc, v24, v10, vcc
	v_cndmask_b32_e64 v25, 0, -1, s[4:5]
	v_cmp_le_u32_e64 s[4:5], s30, v23
	v_cmp_le_u32_e32 vcc, s31, v10
	v_cndmask_b32_e64 v23, 0, -1, s[4:5]
	v_cmp_eq_u32_e64 s[4:5], s31, v12
	v_cndmask_b32_e64 v24, 0, -1, vcc
	v_cmp_le_u32_e32 vcc, s30, v9
	v_cndmask_b32_e64 v12, v25, v23, s[4:5]
	v_cndmask_b32_e64 v9, 0, -1, vcc
	v_cmp_eq_u32_e32 vcc, s31, v10
	v_add_co_u32_e64 v23, s[4:5], 2, v11
	v_add_co_u32_e64 v25, s[4:5], 1, v11
	v_cndmask_b32_e32 v9, v24, v9, vcc
	v_cmp_ne_u32_e32 vcc, 0, v12
	v_cndmask_b32_e32 v10, v25, v23, vcc
	v_cmp_ne_u32_e32 vcc, 0, v9
	v_cndmask_b32_e32 v9, v11, v10, vcc
	v_xor_b32_e32 v10, s8, v13
	v_xor_b32_e32 v9, v9, v10
	v_sub_co_u32_e32 v11, vcc, v9, v10
                                        ; implicit-def: $vgpr13
                                        ; implicit-def: $vgpr9_vgpr10
.LBB1_29:                               ;   in Loop: Header=BB1_19 Depth=2
	s_andn2_saveexec_b64 s[4:5], s[6:7]
	s_cbranch_execz .LBB1_31
; %bb.30:                               ;   in Loop: Header=BB1_19 Depth=2
	v_rcp_iflag_f32_e32 v10, v13
	s_sub_i32 s6, 0, s53
	v_mul_f32_e32 v10, 0x4f7ffffe, v10
	v_cvt_u32_f32_e32 v10, v10
	v_mul_lo_u32 v11, s6, v10
	v_mul_hi_u32 v11, v10, v11
	v_add_u32_e32 v10, v10, v11
	v_mul_hi_u32 v10, v9, v10
	v_mul_lo_u32 v11, v10, s53
	v_add_u32_e32 v12, 1, v10
	v_sub_u32_e32 v9, v9, v11
	v_subrev_u32_e32 v11, s53, v9
	v_cmp_le_u32_e32 vcc, s53, v9
	v_cndmask_b32_e32 v9, v9, v11, vcc
	v_cndmask_b32_e32 v10, v10, v12, vcc
	v_add_u32_e32 v11, 1, v10
	v_cmp_le_u32_e32 vcc, s53, v9
	v_cndmask_b32_e32 v11, v10, v11, vcc
.LBB1_31:                               ;   in Loop: Header=BB1_19 Depth=2
	s_or_b64 exec, exec, s[4:5]
	v_mad_u64_u32 v[12:13], s[4:5], v6, s54, v[7:8]
	v_mov_b32_e32 v13, 0xff800000
	v_add_u32_e32 v8, v22, v12
	s_and_saveexec_b64 s[30:31], s[2:3]
	s_cbranch_execz .LBB1_18
; %bb.32:                               ;   in Loop: Header=BB1_19 Depth=2
	v_sub_u32_e32 v9, v11, v12
	v_ashrrev_i32_e32 v11, 31, v12
	v_add_u32_e32 v23, 1, v9
	v_mad_u64_u32 v[9:10], s[4:5], s18, v12, v[3:4]
	v_mul_lo_u32 v12, s19, v12
	v_mul_lo_u32 v11, s18, v11
	v_add_u32_e32 v6, v5, v6
	v_mad_u64_u32 v[6:7], s[4:5], s13, v6, v[7:8]
	s_mov_b32 s23, 0
	v_cmp_lt_i32_e32 vcc, 0, v23
	v_add3_u32 v10, v12, v10, v11
	v_mov_b32_e32 v13, 0xff800000
	s_mov_b64 s[34:35], 0
	s_branch .LBB1_34
.LBB1_33:                               ;   in Loop: Header=BB1_34 Depth=3
	s_or_b64 exec, exec, s[36:37]
	v_mov_b32_e32 v7, s17
	v_add_co_u32_e64 v9, s[4:5], s16, v9
	s_add_i32 s23, s23, 1
	v_addc_co_u32_e64 v10, s[4:5], v10, v7, s[4:5]
	v_cmp_ge_i32_e64 s[4:5], s23, v17
	s_or_b64 s[34:35], s[4:5], s[34:35]
	v_add_u32_e32 v6, s13, v6
	s_andn2_b64 exec, exec, s[34:35]
	s_cbranch_execz .LBB1_17
.LBB1_34:                               ;   Parent Loop BB1_3 Depth=1
                                        ;     Parent Loop BB1_19 Depth=2
                                        ; =>    This Loop Header: Depth=3
                                        ;         Child Loop BB1_36 Depth 4
	s_and_saveexec_b64 s[36:37], vcc
	s_cbranch_execz .LBB1_33
; %bb.35:                               ;   in Loop: Header=BB1_34 Depth=3
	v_mov_b32_e32 v12, v10
	s_mov_b32 s25, 0
	s_mov_b64 s[38:39], 0
	v_mov_b32_e32 v11, v9
.LBB1_36:                               ;   Parent Loop BB1_3 Depth=1
                                        ;     Parent Loop BB1_19 Depth=2
                                        ;       Parent Loop BB1_34 Depth=3
                                        ; =>      This Inner Loop Header: Depth=4
	global_load_dword v7, v[11:12], off
	v_mov_b32_e32 v25, s19
	v_add_co_u32_e64 v11, s[4:5], s18, v11
	v_add_u32_e32 v24, s25, v6
	s_add_i32 s25, s25, 1
	v_addc_co_u32_e64 v12, s[4:5], v12, v25, s[4:5]
	v_cmp_ge_i32_e64 s[4:5], s25, v23
	s_waitcnt vmcnt(0)
	v_cmp_gt_f32_e64 s[6:7], v7, v13
	v_cmp_u_f32_e64 s[8:9], v7, v7
	s_or_b64 s[6:7], s[6:7], s[8:9]
	v_cndmask_b32_e64 v8, v8, v24, s[6:7]
	s_or_b64 s[38:39], s[4:5], s[38:39]
	v_cndmask_b32_e64 v13, v13, v7, s[6:7]
	s_andn2_b64 exec, exec, s[38:39]
	s_cbranch_execnz .LBB1_36
; %bb.37:                               ;   in Loop: Header=BB1_34 Depth=3
	s_or_b64 exec, exec, s[38:39]
	s_branch .LBB1_33
.LBB1_38:
	s_endpgm
	.section	.rodata,"a",@progbits
	.p2align	6, 0x0
	.amdhsa_kernel _ZN2at6native12_GLOBAL__N_115adaptivemaxpoolIfEEvPKT_PS3_Pliiiilll
		.amdhsa_group_segment_fixed_size 0
		.amdhsa_private_segment_fixed_size 0
		.amdhsa_kernarg_size 320
		.amdhsa_user_sgpr_count 6
		.amdhsa_user_sgpr_private_segment_buffer 1
		.amdhsa_user_sgpr_dispatch_ptr 0
		.amdhsa_user_sgpr_queue_ptr 0
		.amdhsa_user_sgpr_kernarg_segment_ptr 1
		.amdhsa_user_sgpr_dispatch_id 0
		.amdhsa_user_sgpr_flat_scratch_init 0
		.amdhsa_user_sgpr_private_segment_size 0
		.amdhsa_uses_dynamic_stack 0
		.amdhsa_system_sgpr_private_segment_wavefront_offset 0
		.amdhsa_system_sgpr_workgroup_id_x 1
		.amdhsa_system_sgpr_workgroup_id_y 1
		.amdhsa_system_sgpr_workgroup_id_z 0
		.amdhsa_system_sgpr_workgroup_info 0
		.amdhsa_system_vgpr_workitem_id 1
		.amdhsa_next_free_vgpr 28
		.amdhsa_next_free_sgpr 55
		.amdhsa_reserve_vcc 1
		.amdhsa_reserve_flat_scratch 0
		.amdhsa_float_round_mode_32 0
		.amdhsa_float_round_mode_16_64 0
		.amdhsa_float_denorm_mode_32 3
		.amdhsa_float_denorm_mode_16_64 3
		.amdhsa_dx10_clamp 1
		.amdhsa_ieee_mode 1
		.amdhsa_fp16_overflow 0
		.amdhsa_exception_fp_ieee_invalid_op 0
		.amdhsa_exception_fp_denorm_src 0
		.amdhsa_exception_fp_ieee_div_zero 0
		.amdhsa_exception_fp_ieee_overflow 0
		.amdhsa_exception_fp_ieee_underflow 0
		.amdhsa_exception_fp_ieee_inexact 0
		.amdhsa_exception_int_div_zero 0
	.end_amdhsa_kernel
	.section	.text._ZN2at6native12_GLOBAL__N_115adaptivemaxpoolIfEEvPKT_PS3_Pliiiilll,"axG",@progbits,_ZN2at6native12_GLOBAL__N_115adaptivemaxpoolIfEEvPKT_PS3_Pliiiilll,comdat
.Lfunc_end1:
	.size	_ZN2at6native12_GLOBAL__N_115adaptivemaxpoolIfEEvPKT_PS3_Pliiiilll, .Lfunc_end1-_ZN2at6native12_GLOBAL__N_115adaptivemaxpoolIfEEvPKT_PS3_Pliiiilll
                                        ; -- End function
	.set _ZN2at6native12_GLOBAL__N_115adaptivemaxpoolIfEEvPKT_PS3_Pliiiilll.num_vgpr, 28
	.set _ZN2at6native12_GLOBAL__N_115adaptivemaxpoolIfEEvPKT_PS3_Pliiiilll.num_agpr, 0
	.set _ZN2at6native12_GLOBAL__N_115adaptivemaxpoolIfEEvPKT_PS3_Pliiiilll.numbered_sgpr, 55
	.set _ZN2at6native12_GLOBAL__N_115adaptivemaxpoolIfEEvPKT_PS3_Pliiiilll.num_named_barrier, 0
	.set _ZN2at6native12_GLOBAL__N_115adaptivemaxpoolIfEEvPKT_PS3_Pliiiilll.private_seg_size, 0
	.set _ZN2at6native12_GLOBAL__N_115adaptivemaxpoolIfEEvPKT_PS3_Pliiiilll.uses_vcc, 1
	.set _ZN2at6native12_GLOBAL__N_115adaptivemaxpoolIfEEvPKT_PS3_Pliiiilll.uses_flat_scratch, 0
	.set _ZN2at6native12_GLOBAL__N_115adaptivemaxpoolIfEEvPKT_PS3_Pliiiilll.has_dyn_sized_stack, 0
	.set _ZN2at6native12_GLOBAL__N_115adaptivemaxpoolIfEEvPKT_PS3_Pliiiilll.has_recursion, 0
	.set _ZN2at6native12_GLOBAL__N_115adaptivemaxpoolIfEEvPKT_PS3_Pliiiilll.has_indirect_call, 0
	.section	.AMDGPU.csdata,"",@progbits
; Kernel info:
; codeLenInByte = 4812
; TotalNumSgprs: 59
; NumVgprs: 28
; ScratchSize: 0
; MemoryBound: 0
; FloatMode: 240
; IeeeMode: 1
; LDSByteSize: 0 bytes/workgroup (compile time only)
; SGPRBlocks: 7
; VGPRBlocks: 6
; NumSGPRsForWavesPerEU: 59
; NumVGPRsForWavesPerEU: 28
; Occupancy: 9
; WaveLimiterHint : 0
; COMPUTE_PGM_RSRC2:SCRATCH_EN: 0
; COMPUTE_PGM_RSRC2:USER_SGPR: 6
; COMPUTE_PGM_RSRC2:TRAP_HANDLER: 0
; COMPUTE_PGM_RSRC2:TGID_X_EN: 1
; COMPUTE_PGM_RSRC2:TGID_Y_EN: 1
; COMPUTE_PGM_RSRC2:TGID_Z_EN: 0
; COMPUTE_PGM_RSRC2:TIDIG_COMP_CNT: 1
	.section	.text._ZN2at6native12_GLOBAL__N_115adaptivemaxpoolIN3c104HalfEEEvPKT_PS5_Pliiiilll,"axG",@progbits,_ZN2at6native12_GLOBAL__N_115adaptivemaxpoolIN3c104HalfEEEvPKT_PS5_Pliiiilll,comdat
	.globl	_ZN2at6native12_GLOBAL__N_115adaptivemaxpoolIN3c104HalfEEEvPKT_PS5_Pliiiilll ; -- Begin function _ZN2at6native12_GLOBAL__N_115adaptivemaxpoolIN3c104HalfEEEvPKT_PS5_Pliiiilll
	.p2align	8
	.type	_ZN2at6native12_GLOBAL__N_115adaptivemaxpoolIN3c104HalfEEEvPKT_PS5_Pliiiilll,@function
_ZN2at6native12_GLOBAL__N_115adaptivemaxpoolIN3c104HalfEEEvPKT_PS5_Pliiiilll: ; @_ZN2at6native12_GLOBAL__N_115adaptivemaxpoolIN3c104HalfEEEvPKT_PS5_Pliiiilll
; %bb.0:
	s_load_dword s10, s[4:5], 0x4c
	s_load_dwordx4 s[12:15], s[4:5], 0x18
	s_add_u32 s8, s4, 64
	s_addc_u32 s9, s5, 0
	s_waitcnt lgkmcnt(0)
	s_lshr_b32 s11, s10, 16
	s_mul_i32 s7, s7, s11
	v_add_u32_e32 v14, s7, v1
	v_cmp_gt_i32_e32 vcc, s14, v14
	s_and_saveexec_b64 s[0:1], vcc
	s_cbranch_execz .LBB2_38
; %bb.1:
	s_load_dword s40, s[8:9], 0x4
	s_load_dwordx4 s[16:19], s[4:5], 0x0
	s_load_dwordx2 s[20:21], s[4:5], 0x10
	s_load_dwordx4 s[0:3], s[4:5], 0x28
	s_load_dwordx2 s[22:23], s[4:5], 0x38
	s_mul_i32 s4, s14, s6
	s_mul_i32 s4, s4, s15
	s_ashr_i32 s5, s4, 31
	s_and_b32 s33, s10, 0xffff
	s_lshl_b64 s[8:9], s[4:5], 1
	s_waitcnt lgkmcnt(0)
	s_add_u32 s41, s18, s8
	s_addc_u32 s42, s19, s9
	s_ashr_i32 s7, s6, 31
	s_lshl_b64 s[4:5], s[4:5], 3
	s_add_u32 s43, s20, s4
	s_addc_u32 s44, s21, s5
	s_mul_hi_u32 s4, s0, s6
	s_mul_i32 s5, s0, s7
	s_add_i32 s4, s4, s5
	s_mul_i32 s1, s1, s6
	s_add_i32 s1, s4, s1
	s_mul_i32 s0, s0, s6
	s_ashr_i32 s45, s14, 31
	s_ashr_i32 s47, s12, 31
	;; [unrolled: 1-line block ×4, first 2 shown]
	s_lshl_b64 s[0:1], s[0:1], 1
	s_add_u32 s10, s16, s0
	s_mul_i32 s40, s40, s11
	s_addc_u32 s11, s17, s1
	s_ashr_i32 s51, s14, 31
	s_add_i32 s0, s14, s51
	s_xor_b32 s52, s0, s51
	s_mov_b32 s46, s14
	v_cvt_f32_u32_e32 v1, s52
	v_cvt_f32_u32_e32 v2, s46
	s_lshl_b64 s[16:17], s[2:3], 1
	s_sub_i32 s2, 0, s52
	v_rcp_iflag_f32_e32 v1, v1
	v_rcp_iflag_f32_e32 v2, v2
	s_mov_b32 s48, s12
	v_cmp_gt_i32_e64 s[0:1], s15, v0
	v_mul_f32_e32 v1, 0x4f7ffffe, v1
	v_cvt_u32_f32_e32 v1, v1
	v_mul_f32_e32 v2, 0x4f7ffffe, v2
	v_cvt_u32_f32_e32 v3, v2
	s_mov_b32 s53, s15
	v_mul_lo_u32 v2, s2, v1
	s_sub_i32 s2, 0, s14
	v_mul_lo_u32 v4, s2, v3
	s_mov_b32 s54, s13
	v_mul_hi_u32 v5, v1, v2
	s_lshl_b64 s[18:19], s[22:23], 1
	v_mul_hi_u32 v4, v3, v4
	s_mov_b64 s[20:21], 0
	v_mov_b32_e32 v2, 0
	s_mov_b32 s22, 0
	v_add_u32_e32 v15, v1, v5
	v_add_u32_e32 v16, v3, v4
	s_ashr_i32 s24, s45, 31
	s_branch .LBB2_3
.LBB2_2:                                ;   in Loop: Header=BB2_3 Depth=1
	s_or_b64 exec, exec, s[26:27]
	v_add_u32_e32 v14, s40, v14
	v_cmp_le_i32_e32 vcc, s14, v14
	s_or_b64 s[20:21], vcc, s[20:21]
	s_andn2_b64 exec, exec, s[20:21]
	s_cbranch_execz .LBB2_38
.LBB2_3:                                ; =>This Loop Header: Depth=1
                                        ;     Child Loop BB2_19 Depth 2
                                        ;       Child Loop BB2_34 Depth 3
                                        ;         Child Loop BB2_36 Depth 4
	v_ashrrev_i32_e32 v8, 31, v14
	v_or_b32_e32 v4, s45, v8
	v_mov_b32_e32 v3, v2
	v_cmp_ne_u64_e32 vcc, 0, v[3:4]
                                        ; implicit-def: $vgpr5_vgpr6
	s_and_saveexec_b64 s[2:3], vcc
	s_xor_b64 s[2:3], exec, s[2:3]
	s_cbranch_execz .LBB2_5
; %bb.4:                                ;   in Loop: Header=BB2_3 Depth=1
	v_ashrrev_i32_e32 v1, 31, v14
	v_add_u32_e32 v3, v14, v1
	v_xor_b32_e32 v3, v3, v1
	v_mul_hi_u32 v4, v3, v15
	v_xor_b32_e32 v1, s51, v1
	v_mul_lo_u32 v5, v4, s52
	v_add_u32_e32 v6, 1, v4
	v_sub_u32_e32 v3, v3, v5
	v_subrev_u32_e32 v5, s52, v3
	v_cmp_le_u32_e32 vcc, s52, v3
	v_cndmask_b32_e32 v3, v3, v5, vcc
	v_cndmask_b32_e32 v4, v4, v6, vcc
	v_add_u32_e32 v5, 1, v4
	v_cmp_le_u32_e32 vcc, s52, v3
	v_cndmask_b32_e32 v3, v4, v5, vcc
	v_xor_b32_e32 v3, v3, v1
	v_sub_u32_e32 v5, v3, v1
	v_ashrrev_i32_e32 v6, 31, v5
.LBB2_5:                                ;   in Loop: Header=BB2_3 Depth=1
	s_andn2_saveexec_b64 s[2:3], s[2:3]
	s_cbranch_execz .LBB2_7
; %bb.6:                                ;   in Loop: Header=BB2_3 Depth=1
	v_mul_hi_u32 v1, v14, v16
	v_mul_lo_u32 v3, v1, s46
	v_add_u32_e32 v4, 1, v1
	v_sub_u32_e32 v3, v14, v3
	v_subrev_u32_e32 v5, s46, v3
	v_cmp_le_u32_e32 vcc, s46, v3
	v_cndmask_b32_e32 v3, v3, v5, vcc
	v_cndmask_b32_e32 v1, v1, v4, vcc
	v_add_u32_e32 v4, 1, v1
	v_cmp_le_u32_e32 vcc, s46, v3
	v_cndmask_b32_e32 v1, v1, v4, vcc
	v_mov_b32_e32 v6, v2
	v_mov_b32_e32 v5, v1
.LBB2_7:                                ;   in Loop: Header=BB2_3 Depth=1
	s_or_b64 exec, exec, s[2:3]
	v_mul_lo_u32 v1, v6, s46
	v_mul_lo_u32 v6, v5, s45
	v_mad_u64_u32 v[3:4], s[2:3], v5, s46, 0
	v_add3_u32 v1, v4, v6, v1
	v_sub_co_u32_e32 v3, vcc, v14, v3
	v_subb_co_u32_e32 v1, vcc, v8, v1, vcc
	v_mul_lo_u32 v1, v1, s48
	v_mul_lo_u32 v6, v3, s47
	v_mad_u64_u32 v[3:4], s[2:3], v3, s48, 0
	v_add3_u32 v4, v4, v6, v1
	v_or_b32_e32 v7, s45, v4
	v_mov_b32_e32 v6, v2
	v_cmp_ne_u64_e32 vcc, 0, v[6:7]
                                        ; implicit-def: $vgpr6_vgpr7
	s_and_saveexec_b64 s[2:3], vcc
	s_xor_b64 s[4:5], exec, s[2:3]
	s_cbranch_execz .LBB2_9
; %bb.8:                                ;   in Loop: Header=BB2_3 Depth=1
	s_add_u32 s2, s46, s24
	s_mov_b32 s25, s24
	s_addc_u32 s3, s45, s24
	s_xor_b64 s[6:7], s[2:3], s[24:25]
	v_cvt_f32_u32_e32 v1, s6
	v_cvt_f32_u32_e32 v6, s7
	s_sub_u32 s8, 0, s6
	s_subb_u32 s9, 0, s7
	v_mac_f32_e32 v1, 0x4f800000, v6
	v_rcp_f32_e32 v1, v1
	v_mul_f32_e32 v1, 0x5f7ffffc, v1
	v_mul_f32_e32 v6, 0x2f800000, v1
	v_trunc_f32_e32 v6, v6
	v_mac_f32_e32 v1, 0xcf800000, v6
	v_cvt_u32_f32_e32 v6, v6
	v_cvt_u32_f32_e32 v1, v1
	v_readfirstlane_b32 s23, v6
	v_readfirstlane_b32 s2, v1
	s_mul_i32 s3, s8, s23
	s_mul_hi_u32 s26, s8, s2
	s_mul_i32 s25, s9, s2
	s_add_i32 s3, s26, s3
	s_add_i32 s3, s3, s25
	s_mul_i32 s27, s8, s2
	s_mul_i32 s26, s2, s3
	s_mul_hi_u32 s28, s2, s27
	s_mul_hi_u32 s25, s2, s3
	s_add_u32 s26, s28, s26
	s_addc_u32 s25, 0, s25
	s_mul_hi_u32 s29, s23, s27
	s_mul_i32 s27, s23, s27
	s_add_u32 s26, s26, s27
	s_mul_hi_u32 s28, s23, s3
	s_addc_u32 s25, s25, s29
	s_addc_u32 s26, s28, 0
	s_mul_i32 s3, s23, s3
	s_add_u32 s3, s25, s3
	s_addc_u32 s25, 0, s26
	s_add_u32 s26, s2, s3
	s_cselect_b64 s[2:3], -1, 0
	s_cmp_lg_u64 s[2:3], 0
	s_addc_u32 s23, s23, s25
	s_mul_i32 s2, s8, s23
	s_mul_hi_u32 s3, s8, s26
	s_add_i32 s2, s3, s2
	s_mul_i32 s9, s9, s26
	s_add_i32 s2, s2, s9
	s_mul_i32 s8, s8, s26
	s_mul_hi_u32 s9, s23, s8
	s_mul_i32 s25, s23, s8
	s_mul_i32 s28, s26, s2
	s_mul_hi_u32 s8, s26, s8
	s_mul_hi_u32 s27, s26, s2
	s_add_u32 s8, s8, s28
	s_addc_u32 s27, 0, s27
	s_add_u32 s8, s8, s25
	s_mul_hi_u32 s3, s23, s2
	s_addc_u32 s8, s27, s9
	s_addc_u32 s3, s3, 0
	s_mul_i32 s2, s23, s2
	s_add_u32 s2, s8, s2
	s_addc_u32 s8, 0, s3
	s_add_u32 s9, s26, s2
	s_cselect_b64 s[2:3], -1, 0
	v_ashrrev_i32_e32 v1, 31, v4
	s_cmp_lg_u64 s[2:3], 0
	v_add_co_u32_e32 v3, vcc, v3, v1
	s_addc_u32 s8, s23, s8
	v_xor_b32_e32 v9, v3, v1
	v_addc_co_u32_e32 v6, vcc, v4, v1, vcc
	v_mad_u64_u32 v[3:4], s[2:3], v9, s8, 0
	v_mul_hi_u32 v7, v9, s9
	v_xor_b32_e32 v10, v6, v1
	v_xor_b32_e32 v1, s24, v1
	v_add_co_u32_e32 v11, vcc, v7, v3
	v_addc_co_u32_e32 v12, vcc, 0, v4, vcc
	v_mad_u64_u32 v[3:4], s[2:3], v10, s9, 0
	v_mad_u64_u32 v[6:7], s[2:3], v10, s8, 0
	v_add_co_u32_e32 v3, vcc, v11, v3
	v_addc_co_u32_e32 v3, vcc, v12, v4, vcc
	v_addc_co_u32_e32 v4, vcc, 0, v7, vcc
	v_add_co_u32_e32 v6, vcc, v3, v6
	v_addc_co_u32_e32 v7, vcc, 0, v4, vcc
	v_mul_lo_u32 v11, s7, v6
	v_mul_lo_u32 v12, s6, v7
	v_mad_u64_u32 v[3:4], s[2:3], s6, v6, 0
	v_add3_u32 v4, v4, v12, v11
	v_sub_u32_e32 v11, v10, v4
	v_mov_b32_e32 v12, s7
	v_sub_co_u32_e32 v3, vcc, v9, v3
	v_subb_co_u32_e64 v9, s[2:3], v11, v12, vcc
	v_subrev_co_u32_e64 v11, s[2:3], s6, v3
	v_subbrev_co_u32_e64 v9, s[2:3], 0, v9, s[2:3]
	v_cmp_le_u32_e64 s[2:3], s7, v9
	v_cndmask_b32_e64 v12, 0, -1, s[2:3]
	v_cmp_le_u32_e64 s[2:3], s6, v11
	v_cndmask_b32_e64 v11, 0, -1, s[2:3]
	v_cmp_eq_u32_e64 s[2:3], s7, v9
	v_cndmask_b32_e64 v9, v12, v11, s[2:3]
	v_add_co_u32_e64 v11, s[2:3], 2, v6
	v_subb_co_u32_e32 v4, vcc, v10, v4, vcc
	v_addc_co_u32_e64 v12, s[2:3], 0, v7, s[2:3]
	v_cmp_le_u32_e32 vcc, s7, v4
	v_add_co_u32_e64 v13, s[2:3], 1, v6
	v_cndmask_b32_e64 v10, 0, -1, vcc
	v_cmp_le_u32_e32 vcc, s6, v3
	v_addc_co_u32_e64 v17, s[2:3], 0, v7, s[2:3]
	v_cndmask_b32_e64 v3, 0, -1, vcc
	v_cmp_eq_u32_e32 vcc, s7, v4
	v_cmp_ne_u32_e64 s[2:3], 0, v9
	v_cndmask_b32_e32 v3, v10, v3, vcc
	v_cmp_ne_u32_e32 vcc, 0, v3
	v_cndmask_b32_e64 v4, v13, v11, s[2:3]
	v_cndmask_b32_e64 v9, v17, v12, s[2:3]
	v_cndmask_b32_e32 v4, v6, v4, vcc
	v_cndmask_b32_e32 v3, v7, v9, vcc
	v_xor_b32_e32 v4, v4, v1
	v_xor_b32_e32 v3, v3, v1
	v_sub_co_u32_e32 v6, vcc, v4, v1
	v_subb_co_u32_e32 v7, vcc, v3, v1, vcc
                                        ; implicit-def: $vgpr3_vgpr4
.LBB2_9:                                ;   in Loop: Header=BB2_3 Depth=1
	s_andn2_saveexec_b64 s[2:3], s[4:5]
	s_cbranch_execz .LBB2_11
; %bb.10:                               ;   in Loop: Header=BB2_3 Depth=1
	v_mul_hi_u32 v1, v3, v16
	v_mul_lo_u32 v4, v1, s46
	v_add_u32_e32 v6, 1, v1
	v_sub_u32_e32 v3, v3, v4
	v_subrev_u32_e32 v4, s46, v3
	v_cmp_le_u32_e32 vcc, s46, v3
	v_cndmask_b32_e32 v3, v3, v4, vcc
	v_cndmask_b32_e32 v1, v1, v6, vcc
	v_add_u32_e32 v4, 1, v1
	v_cmp_le_u32_e32 vcc, s46, v3
	v_cndmask_b32_e32 v1, v1, v4, vcc
	v_mov_b32_e32 v7, v2
	v_mov_b32_e32 v6, v1
.LBB2_11:                               ;   in Loop: Header=BB2_3 Depth=1
	s_or_b64 exec, exec, s[2:3]
	v_add_co_u32_e32 v1, vcc, 1, v14
	v_addc_co_u32_e32 v3, vcc, 0, v8, vcc
	v_mul_lo_u32 v8, v1, s47
	v_mul_lo_u32 v9, v3, s48
	v_mad_u64_u32 v[3:4], s[2:3], v1, s48, -1
	v_add3_u32 v4, v9, v4, v8
	v_or_b32_e32 v9, s45, v4
	v_mov_b32_e32 v8, v2
	v_cmp_ne_u64_e32 vcc, 0, v[8:9]
                                        ; implicit-def: $vgpr8_vgpr9
	s_and_saveexec_b64 s[2:3], vcc
	s_xor_b64 s[4:5], exec, s[2:3]
	s_cbranch_execnz .LBB2_14
; %bb.12:                               ;   in Loop: Header=BB2_3 Depth=1
	s_andn2_saveexec_b64 s[2:3], s[4:5]
	s_cbranch_execnz .LBB2_15
.LBB2_13:                               ;   in Loop: Header=BB2_3 Depth=1
	s_or_b64 exec, exec, s[2:3]
	s_and_saveexec_b64 s[26:27], s[0:1]
	s_cbranch_execz .LBB2_2
	s_branch .LBB2_16
.LBB2_14:                               ;   in Loop: Header=BB2_3 Depth=1
	s_add_u32 s2, s46, s24
	s_mov_b32 s25, s24
	s_addc_u32 s3, s45, s24
	s_xor_b64 s[6:7], s[2:3], s[24:25]
	v_cvt_f32_u32_e32 v1, s6
	v_cvt_f32_u32_e32 v8, s7
	s_sub_u32 s8, 0, s6
	s_subb_u32 s9, 0, s7
	v_mac_f32_e32 v1, 0x4f800000, v8
	v_rcp_f32_e32 v1, v1
	v_mul_f32_e32 v1, 0x5f7ffffc, v1
	v_mul_f32_e32 v8, 0x2f800000, v1
	v_trunc_f32_e32 v8, v8
	v_mac_f32_e32 v1, 0xcf800000, v8
	v_cvt_u32_f32_e32 v8, v8
	v_cvt_u32_f32_e32 v1, v1
	v_readfirstlane_b32 s23, v8
	v_readfirstlane_b32 s2, v1
	s_mul_i32 s3, s8, s23
	s_mul_hi_u32 s26, s8, s2
	s_mul_i32 s25, s9, s2
	s_add_i32 s3, s26, s3
	s_add_i32 s3, s3, s25
	s_mul_i32 s27, s8, s2
	s_mul_i32 s26, s2, s3
	s_mul_hi_u32 s28, s2, s27
	s_mul_hi_u32 s25, s2, s3
	s_add_u32 s26, s28, s26
	s_addc_u32 s25, 0, s25
	s_mul_hi_u32 s29, s23, s27
	s_mul_i32 s27, s23, s27
	s_add_u32 s26, s26, s27
	s_mul_hi_u32 s28, s23, s3
	s_addc_u32 s25, s25, s29
	s_addc_u32 s26, s28, 0
	s_mul_i32 s3, s23, s3
	s_add_u32 s3, s25, s3
	s_addc_u32 s25, 0, s26
	s_add_u32 s26, s2, s3
	s_cselect_b64 s[2:3], -1, 0
	s_cmp_lg_u64 s[2:3], 0
	s_addc_u32 s23, s23, s25
	s_mul_i32 s2, s8, s23
	s_mul_hi_u32 s3, s8, s26
	s_add_i32 s2, s3, s2
	s_mul_i32 s9, s9, s26
	s_add_i32 s2, s2, s9
	s_mul_i32 s8, s8, s26
	s_mul_hi_u32 s9, s23, s8
	s_mul_i32 s25, s23, s8
	s_mul_i32 s28, s26, s2
	s_mul_hi_u32 s8, s26, s8
	s_mul_hi_u32 s27, s26, s2
	s_add_u32 s8, s8, s28
	s_addc_u32 s27, 0, s27
	s_add_u32 s8, s8, s25
	s_mul_hi_u32 s3, s23, s2
	s_addc_u32 s8, s27, s9
	s_addc_u32 s3, s3, 0
	s_mul_i32 s2, s23, s2
	s_add_u32 s2, s8, s2
	s_addc_u32 s8, 0, s3
	s_add_u32 s9, s26, s2
	s_cselect_b64 s[2:3], -1, 0
	v_ashrrev_i32_e32 v1, 31, v4
	s_cmp_lg_u64 s[2:3], 0
	v_add_co_u32_e32 v3, vcc, v3, v1
	s_addc_u32 s8, s23, s8
	v_xor_b32_e32 v10, v3, v1
	v_addc_co_u32_e32 v8, vcc, v4, v1, vcc
	v_mad_u64_u32 v[3:4], s[2:3], v10, s8, 0
	v_mul_hi_u32 v9, v10, s9
	v_xor_b32_e32 v11, v8, v1
	v_xor_b32_e32 v1, s24, v1
	v_add_co_u32_e32 v12, vcc, v9, v3
	v_addc_co_u32_e32 v13, vcc, 0, v4, vcc
	v_mad_u64_u32 v[3:4], s[2:3], v11, s9, 0
	v_mad_u64_u32 v[8:9], s[2:3], v11, s8, 0
	v_add_co_u32_e32 v3, vcc, v12, v3
	v_addc_co_u32_e32 v3, vcc, v13, v4, vcc
	v_addc_co_u32_e32 v4, vcc, 0, v9, vcc
	v_add_co_u32_e32 v8, vcc, v3, v8
	v_addc_co_u32_e32 v3, vcc, 0, v4, vcc
	v_mul_lo_u32 v9, s7, v8
	v_mul_lo_u32 v12, s6, v3
	v_mad_u64_u32 v[3:4], s[2:3], s6, v8, 0
	v_add3_u32 v4, v4, v12, v9
	v_sub_u32_e32 v9, v11, v4
	v_mov_b32_e32 v12, s7
	v_sub_co_u32_e32 v3, vcc, v10, v3
	v_subb_co_u32_e64 v9, s[2:3], v9, v12, vcc
	v_subrev_co_u32_e64 v10, s[2:3], s6, v3
	v_subbrev_co_u32_e64 v9, s[2:3], 0, v9, s[2:3]
	v_cmp_le_u32_e64 s[2:3], s7, v9
	v_subb_co_u32_e32 v4, vcc, v11, v4, vcc
	v_cndmask_b32_e64 v12, 0, -1, s[2:3]
	v_cmp_le_u32_e64 s[2:3], s6, v10
	v_cmp_le_u32_e32 vcc, s7, v4
	v_cndmask_b32_e64 v10, 0, -1, s[2:3]
	v_cmp_eq_u32_e64 s[2:3], s7, v9
	v_cndmask_b32_e64 v11, 0, -1, vcc
	v_cmp_le_u32_e32 vcc, s6, v3
	v_cndmask_b32_e64 v9, v12, v10, s[2:3]
	v_cndmask_b32_e64 v3, 0, -1, vcc
	v_cmp_eq_u32_e32 vcc, s7, v4
	v_add_co_u32_e64 v10, s[2:3], 2, v8
	v_add_co_u32_e64 v12, s[2:3], 1, v8
	v_cndmask_b32_e32 v3, v11, v3, vcc
	v_cmp_ne_u32_e32 vcc, 0, v9
	v_cndmask_b32_e32 v4, v12, v10, vcc
	v_cmp_ne_u32_e32 vcc, 0, v3
	v_cndmask_b32_e32 v3, v8, v4, vcc
	v_xor_b32_e32 v3, v3, v1
	v_sub_co_u32_e32 v8, vcc, v3, v1
                                        ; implicit-def: $vgpr3_vgpr4
	s_andn2_saveexec_b64 s[2:3], s[4:5]
	s_cbranch_execz .LBB2_13
.LBB2_15:                               ;   in Loop: Header=BB2_3 Depth=1
	v_mul_hi_u32 v1, v3, v16
	v_mul_lo_u32 v4, v1, s46
	v_add_u32_e32 v8, 1, v1
	v_sub_u32_e32 v3, v3, v4
	v_subrev_u32_e32 v4, s46, v3
	v_cmp_le_u32_e32 vcc, s46, v3
	v_cndmask_b32_e32 v3, v3, v4, vcc
	v_cndmask_b32_e32 v1, v1, v8, vcc
	v_add_u32_e32 v4, 1, v1
	v_cmp_le_u32_e32 vcc, s46, v3
	v_cndmask_b32_e32 v8, v1, v4, vcc
	s_or_b64 exec, exec, s[2:3]
	s_and_saveexec_b64 s[26:27], s[0:1]
	s_cbranch_execz .LBB2_2
.LBB2_16:                               ;   in Loop: Header=BB2_3 Depth=1
	v_mad_u64_u32 v[3:4], s[2:3], v5, s48, v[6:7]
	v_mul_lo_u32 v7, v14, s15
	s_mov_b64 s[28:29], 0
	v_sub_u32_e32 v1, v8, v3
	v_add_u32_e32 v17, 1, v1
	v_ashrrev_i32_e32 v8, 31, v7
	v_lshlrev_b64 v[9:10], 1, v[7:8]
	v_mov_b32_e32 v1, s42
	v_add_co_u32_e32 v18, vcc, s41, v9
	v_lshlrev_b64 v[7:8], 3, v[7:8]
	v_addc_co_u32_e32 v19, vcc, v1, v10, vcc
	v_mov_b32_e32 v1, s44
	v_add_co_u32_e32 v20, vcc, s43, v7
	v_addc_co_u32_e32 v21, vcc, v1, v8, vcc
	v_mov_b32_e32 v7, s10
	v_ashrrev_i32_e32 v4, 31, v3
	v_mov_b32_e32 v8, s11
	v_mul_lo_u32 v22, s13, v3
	v_mul_lo_u32 v1, s16, v4
	;; [unrolled: 1-line block ×3, first 2 shown]
	v_mad_u64_u32 v[3:4], s[2:3], s16, v3, v[7:8]
	v_mad_u64_u32 v[5:6], s[4:5], s12, v5, v[6:7]
	v_cmp_lt_i32_e64 s[2:3], 0, v17
	v_add3_u32 v4, v9, v4, v1
	v_mov_b32_e32 v1, v0
	s_branch .LBB2_19
.LBB2_17:                               ;   in Loop: Header=BB2_19 Depth=2
	s_or_b64 exec, exec, s[34:35]
.LBB2_18:                               ;   in Loop: Header=BB2_19 Depth=2
	s_or_b64 exec, exec, s[30:31]
	v_lshlrev_b64 v[6:7], 1, v[1:2]
	v_lshlrev_b64 v[9:10], 3, v[1:2]
	v_add_co_u32_e32 v6, vcc, v18, v6
	v_addc_co_u32_e32 v7, vcc, v19, v7, vcc
	v_add_co_u32_e32 v11, vcc, v20, v9
	v_addc_co_u32_e32 v12, vcc, v21, v10, vcc
	v_add_u32_e32 v1, s33, v1
	v_cmp_le_i32_e32 vcc, s15, v1
	v_ashrrev_i32_e32 v9, 31, v8
	s_or_b64 s[28:29], vcc, s[28:29]
	global_store_short v[6:7], v13, off
	global_store_dwordx2 v[11:12], v[8:9], off
	s_andn2_b64 exec, exec, s[28:29]
	s_cbranch_execz .LBB2_2
.LBB2_19:                               ;   Parent Loop BB2_3 Depth=1
                                        ; =>  This Loop Header: Depth=2
                                        ;       Child Loop BB2_34 Depth 3
                                        ;         Child Loop BB2_36 Depth 4
	s_mov_b32 s23, s49
	s_cmp_lg_u64 s[22:23], 0
	s_cselect_b64 s[4:5], -1, 0
                                        ; implicit-def: $vgpr6_vgpr7
	s_and_saveexec_b64 s[6:7], s[4:5]
	s_xor_b64 s[6:7], exec, s[6:7]
	s_cbranch_execz .LBB2_21
; %bb.20:                               ;   in Loop: Header=BB2_19 Depth=2
	s_ashr_i32 s8, s49, 31
	s_add_u32 s4, s53, s8
	s_mov_b32 s9, s8
	s_addc_u32 s5, s49, s8
	s_xor_b64 s[30:31], s[4:5], s[8:9]
	v_cvt_f32_u32_e32 v6, s30
	v_cvt_f32_u32_e32 v7, s31
	s_sub_u32 s9, 0, s30
	s_subb_u32 s23, 0, s31
	v_add_co_u32_e32 v10, vcc, 0, v1
	v_mac_f32_e32 v6, 0x4f800000, v7
	v_rcp_f32_e32 v6, v6
	v_mul_f32_e32 v6, 0x5f7ffffc, v6
	v_mul_f32_e32 v7, 0x2f800000, v6
	v_trunc_f32_e32 v7, v7
	v_mac_f32_e32 v6, 0xcf800000, v7
	v_cvt_u32_f32_e32 v7, v7
	v_cvt_u32_f32_e32 v6, v6
	v_readfirstlane_b32 s25, v7
	v_readfirstlane_b32 s4, v6
	s_mul_i32 s5, s9, s25
	s_mul_hi_u32 s35, s9, s4
	s_mul_i32 s34, s23, s4
	s_add_i32 s5, s35, s5
	s_add_i32 s5, s5, s34
	s_mul_i32 s36, s9, s4
	s_mul_i32 s35, s4, s5
	s_mul_hi_u32 s37, s4, s36
	s_mul_hi_u32 s34, s4, s5
	s_add_u32 s35, s37, s35
	s_addc_u32 s34, 0, s34
	s_mul_hi_u32 s38, s25, s36
	s_mul_i32 s36, s25, s36
	s_add_u32 s35, s35, s36
	s_mul_hi_u32 s37, s25, s5
	s_addc_u32 s34, s34, s38
	s_addc_u32 s35, s37, 0
	s_mul_i32 s5, s25, s5
	s_add_u32 s5, s34, s5
	s_addc_u32 s34, 0, s35
	s_add_u32 s35, s4, s5
	s_cselect_b64 s[4:5], -1, 0
	s_cmp_lg_u64 s[4:5], 0
	s_addc_u32 s25, s25, s34
	s_mul_i32 s4, s9, s25
	s_mul_hi_u32 s5, s9, s35
	s_add_i32 s4, s5, s4
	s_mul_i32 s23, s23, s35
	s_add_i32 s4, s4, s23
	s_mul_i32 s9, s9, s35
	s_mul_hi_u32 s23, s25, s9
	s_mul_i32 s34, s25, s9
	s_mul_i32 s37, s35, s4
	s_mul_hi_u32 s9, s35, s9
	s_mul_hi_u32 s36, s35, s4
	s_add_u32 s9, s9, s37
	s_addc_u32 s36, 0, s36
	s_add_u32 s9, s9, s34
	s_mul_hi_u32 s5, s25, s4
	s_addc_u32 s9, s36, s23
	s_addc_u32 s5, s5, 0
	s_mul_i32 s4, s25, s4
	s_add_u32 s4, s9, s4
	s_addc_u32 s9, 0, s5
	s_add_u32 s23, s35, s4
	s_cselect_b64 s[4:5], -1, 0
	s_cmp_lg_u64 s[4:5], 0
	s_addc_u32 s9, s25, s9
	v_mad_u64_u32 v[6:7], s[4:5], v10, s9, 0
	v_mul_hi_u32 v8, v10, s23
	v_addc_co_u32_e64 v11, s[4:5], 0, 0, vcc
	v_add_co_u32_e32 v12, vcc, v8, v6
	v_addc_co_u32_e32 v13, vcc, 0, v7, vcc
	v_mad_u64_u32 v[6:7], s[4:5], v11, s23, 0
	v_mad_u64_u32 v[8:9], s[4:5], v11, s9, 0
	v_add_co_u32_e32 v6, vcc, v12, v6
	v_addc_co_u32_e32 v6, vcc, v13, v7, vcc
	v_addc_co_u32_e32 v7, vcc, 0, v9, vcc
	v_add_co_u32_e32 v8, vcc, v6, v8
	v_addc_co_u32_e32 v9, vcc, 0, v7, vcc
	v_mul_lo_u32 v12, s31, v8
	v_mul_lo_u32 v13, s30, v9
	v_mad_u64_u32 v[6:7], s[4:5], s30, v8, 0
	v_add3_u32 v7, v7, v13, v12
	v_sub_u32_e32 v12, v11, v7
	v_mov_b32_e32 v13, s31
	v_sub_co_u32_e32 v6, vcc, v10, v6
	v_subb_co_u32_e64 v10, s[4:5], v12, v13, vcc
	v_subrev_co_u32_e64 v12, s[4:5], s30, v6
	v_subbrev_co_u32_e64 v10, s[4:5], 0, v10, s[4:5]
	v_cmp_le_u32_e64 s[4:5], s31, v10
	v_cndmask_b32_e64 v13, 0, -1, s[4:5]
	v_cmp_le_u32_e64 s[4:5], s30, v12
	v_cndmask_b32_e64 v12, 0, -1, s[4:5]
	v_cmp_eq_u32_e64 s[4:5], s31, v10
	v_cndmask_b32_e64 v10, v13, v12, s[4:5]
	v_add_co_u32_e64 v12, s[4:5], 2, v8
	v_subb_co_u32_e32 v7, vcc, v11, v7, vcc
	v_addc_co_u32_e64 v13, s[4:5], 0, v9, s[4:5]
	v_cmp_le_u32_e32 vcc, s31, v7
	v_add_co_u32_e64 v23, s[4:5], 1, v8
	v_cndmask_b32_e64 v11, 0, -1, vcc
	v_cmp_le_u32_e32 vcc, s30, v6
	v_addc_co_u32_e64 v24, s[4:5], 0, v9, s[4:5]
	v_cndmask_b32_e64 v6, 0, -1, vcc
	v_cmp_eq_u32_e32 vcc, s31, v7
	v_cmp_ne_u32_e64 s[4:5], 0, v10
	v_cndmask_b32_e32 v6, v11, v6, vcc
	v_cndmask_b32_e64 v10, v24, v13, s[4:5]
	v_cmp_ne_u32_e32 vcc, 0, v6
	v_cndmask_b32_e64 v7, v23, v12, s[4:5]
	v_cndmask_b32_e32 v6, v9, v10, vcc
	v_cndmask_b32_e32 v7, v8, v7, vcc
	v_xor_b32_e32 v8, s8, v6
	v_xor_b32_e32 v6, s8, v7
	v_mov_b32_e32 v7, s8
	v_subrev_co_u32_e32 v6, vcc, s8, v6
	v_subb_co_u32_e32 v7, vcc, v8, v7, vcc
.LBB2_21:                               ;   in Loop: Header=BB2_19 Depth=2
	s_or_saveexec_b64 s[4:5], s[6:7]
	v_cvt_f32_u32_e32 v13, s53
	s_xor_b64 exec, exec, s[4:5]
	s_cbranch_execz .LBB2_23
; %bb.22:                               ;   in Loop: Header=BB2_19 Depth=2
	v_rcp_iflag_f32_e32 v6, v13
	s_sub_i32 s6, 0, s53
	v_mul_f32_e32 v6, 0x4f7ffffe, v6
	v_cvt_u32_f32_e32 v6, v6
	v_mul_lo_u32 v7, s6, v6
	v_mul_hi_u32 v7, v6, v7
	v_add_u32_e32 v6, v6, v7
	v_mul_hi_u32 v6, v1, v6
	v_mul_lo_u32 v7, v6, s53
	v_add_u32_e32 v8, 1, v6
	v_sub_u32_e32 v7, v1, v7
	v_subrev_u32_e32 v9, s53, v7
	v_cmp_le_u32_e32 vcc, s53, v7
	v_cndmask_b32_e32 v7, v7, v9, vcc
	v_cndmask_b32_e32 v6, v6, v8, vcc
	v_add_u32_e32 v8, 1, v6
	v_cmp_le_u32_e32 vcc, s53, v7
	v_cndmask_b32_e32 v6, v6, v8, vcc
	v_mov_b32_e32 v7, v2
.LBB2_23:                               ;   in Loop: Header=BB2_19 Depth=2
	s_or_b64 exec, exec, s[4:5]
	v_mul_lo_u32 v9, v7, s53
	v_mul_lo_u32 v10, v6, s49
	v_mad_u64_u32 v[7:8], s[4:5], v6, s53, 0
	v_add3_u32 v8, v8, v10, v9
	v_sub_co_u32_e32 v7, vcc, v1, v7
	v_subb_co_u32_e32 v8, vcc, 0, v8, vcc
	v_mul_lo_u32 v8, v8, s54
	v_mul_lo_u32 v11, v7, s50
	v_mad_u64_u32 v[9:10], s[4:5], v7, s54, 0
	v_mov_b32_e32 v7, v2
	v_add3_u32 v10, v10, v11, v8
	v_or_b32_e32 v8, s49, v10
	v_cmp_ne_u64_e32 vcc, 0, v[7:8]
                                        ; implicit-def: $vgpr7_vgpr8
	s_and_saveexec_b64 s[4:5], vcc
	s_xor_b64 s[6:7], exec, s[4:5]
	s_cbranch_execz .LBB2_25
; %bb.24:                               ;   in Loop: Header=BB2_19 Depth=2
	s_ashr_i32 s8, s49, 31
	s_add_u32 s4, s53, s8
	s_mov_b32 s9, s8
	s_addc_u32 s5, s49, s8
	s_xor_b64 s[30:31], s[4:5], s[8:9]
	v_cvt_f32_u32_e32 v7, s30
	v_cvt_f32_u32_e32 v8, s31
	s_sub_u32 s9, 0, s30
	s_subb_u32 s23, 0, s31
	v_ashrrev_i32_e32 v11, 31, v10
	v_mac_f32_e32 v7, 0x4f800000, v8
	v_rcp_f32_e32 v7, v7
	v_mul_f32_e32 v7, 0x5f7ffffc, v7
	v_mul_f32_e32 v8, 0x2f800000, v7
	v_trunc_f32_e32 v8, v8
	v_mac_f32_e32 v7, 0xcf800000, v8
	v_cvt_u32_f32_e32 v8, v8
	v_cvt_u32_f32_e32 v7, v7
	v_readfirstlane_b32 s25, v8
	v_readfirstlane_b32 s4, v7
	s_mul_i32 s5, s9, s25
	s_mul_hi_u32 s35, s9, s4
	s_mul_i32 s34, s23, s4
	s_add_i32 s5, s35, s5
	s_add_i32 s5, s5, s34
	s_mul_i32 s36, s9, s4
	s_mul_i32 s35, s4, s5
	s_mul_hi_u32 s37, s4, s36
	s_mul_hi_u32 s34, s4, s5
	s_add_u32 s35, s37, s35
	s_addc_u32 s34, 0, s34
	s_mul_hi_u32 s38, s25, s36
	s_mul_i32 s36, s25, s36
	s_add_u32 s35, s35, s36
	s_mul_hi_u32 s37, s25, s5
	s_addc_u32 s34, s34, s38
	s_addc_u32 s35, s37, 0
	s_mul_i32 s5, s25, s5
	s_add_u32 s5, s34, s5
	s_addc_u32 s34, 0, s35
	s_add_u32 s35, s4, s5
	s_cselect_b64 s[4:5], -1, 0
	s_cmp_lg_u64 s[4:5], 0
	s_addc_u32 s25, s25, s34
	s_mul_i32 s4, s9, s25
	s_mul_hi_u32 s5, s9, s35
	s_add_i32 s4, s5, s4
	s_mul_i32 s23, s23, s35
	s_add_i32 s4, s4, s23
	s_mul_i32 s9, s9, s35
	s_mul_hi_u32 s23, s25, s9
	s_mul_i32 s34, s25, s9
	s_mul_i32 s37, s35, s4
	s_mul_hi_u32 s9, s35, s9
	s_mul_hi_u32 s36, s35, s4
	s_add_u32 s9, s9, s37
	s_addc_u32 s36, 0, s36
	s_add_u32 s9, s9, s34
	s_mul_hi_u32 s5, s25, s4
	s_addc_u32 s9, s36, s23
	s_addc_u32 s5, s5, 0
	s_mul_i32 s4, s25, s4
	s_add_u32 s4, s9, s4
	s_addc_u32 s9, 0, s5
	s_add_u32 s23, s35, s4
	s_cselect_b64 s[4:5], -1, 0
	s_cmp_lg_u64 s[4:5], 0
	v_add_co_u32_e32 v7, vcc, v9, v11
	s_addc_u32 s9, s25, s9
	v_xor_b32_e32 v12, v7, v11
	v_addc_co_u32_e32 v9, vcc, v10, v11, vcc
	v_mad_u64_u32 v[7:8], s[4:5], v12, s9, 0
	v_mul_hi_u32 v10, v12, s23
	v_xor_b32_e32 v23, v9, v11
	v_add_co_u32_e32 v24, vcc, v10, v7
	v_addc_co_u32_e32 v25, vcc, 0, v8, vcc
	v_mad_u64_u32 v[7:8], s[4:5], v23, s23, 0
	v_mad_u64_u32 v[9:10], s[4:5], v23, s9, 0
	v_add_co_u32_e32 v7, vcc, v24, v7
	v_addc_co_u32_e32 v7, vcc, v25, v8, vcc
	v_addc_co_u32_e32 v8, vcc, 0, v10, vcc
	v_add_co_u32_e32 v9, vcc, v7, v9
	v_addc_co_u32_e32 v10, vcc, 0, v8, vcc
	v_mul_lo_u32 v24, s31, v9
	v_mul_lo_u32 v25, s30, v10
	v_mad_u64_u32 v[7:8], s[4:5], s30, v9, 0
	v_add3_u32 v8, v8, v25, v24
	v_sub_u32_e32 v24, v23, v8
	v_mov_b32_e32 v25, s31
	v_sub_co_u32_e32 v7, vcc, v12, v7
	v_subb_co_u32_e64 v12, s[4:5], v24, v25, vcc
	v_subrev_co_u32_e64 v24, s[4:5], s30, v7
	v_subbrev_co_u32_e64 v12, s[4:5], 0, v12, s[4:5]
	v_cmp_le_u32_e64 s[4:5], s31, v12
	v_cndmask_b32_e64 v25, 0, -1, s[4:5]
	v_cmp_le_u32_e64 s[4:5], s30, v24
	v_cndmask_b32_e64 v24, 0, -1, s[4:5]
	v_cmp_eq_u32_e64 s[4:5], s31, v12
	v_cndmask_b32_e64 v12, v25, v24, s[4:5]
	v_add_co_u32_e64 v24, s[4:5], 2, v9
	v_subb_co_u32_e32 v8, vcc, v23, v8, vcc
	v_addc_co_u32_e64 v25, s[4:5], 0, v10, s[4:5]
	v_cmp_le_u32_e32 vcc, s31, v8
	v_add_co_u32_e64 v26, s[4:5], 1, v9
	v_cndmask_b32_e64 v23, 0, -1, vcc
	v_cmp_le_u32_e32 vcc, s30, v7
	v_addc_co_u32_e64 v27, s[4:5], 0, v10, s[4:5]
	v_cndmask_b32_e64 v7, 0, -1, vcc
	v_cmp_eq_u32_e32 vcc, s31, v8
	v_cmp_ne_u32_e64 s[4:5], 0, v12
	v_cndmask_b32_e32 v7, v23, v7, vcc
	v_cndmask_b32_e64 v12, v27, v25, s[4:5]
	v_cmp_ne_u32_e32 vcc, 0, v7
	v_cndmask_b32_e64 v8, v26, v24, s[4:5]
	v_cndmask_b32_e32 v7, v10, v12, vcc
	v_cndmask_b32_e32 v8, v9, v8, vcc
	v_xor_b32_e32 v9, s8, v11
	v_xor_b32_e32 v10, v7, v9
	;; [unrolled: 1-line block ×3, first 2 shown]
	v_sub_co_u32_e32 v7, vcc, v7, v9
	v_subb_co_u32_e32 v8, vcc, v10, v9, vcc
                                        ; implicit-def: $vgpr9_vgpr10
.LBB2_25:                               ;   in Loop: Header=BB2_19 Depth=2
	s_andn2_saveexec_b64 s[4:5], s[6:7]
	s_cbranch_execz .LBB2_27
; %bb.26:                               ;   in Loop: Header=BB2_19 Depth=2
	v_rcp_iflag_f32_e32 v7, v13
	s_sub_i32 s6, 0, s53
	v_mul_f32_e32 v7, 0x4f7ffffe, v7
	v_cvt_u32_f32_e32 v7, v7
	v_mul_lo_u32 v8, s6, v7
	v_mul_hi_u32 v8, v7, v8
	v_add_u32_e32 v7, v7, v8
	v_mul_hi_u32 v7, v9, v7
	v_mul_lo_u32 v8, v7, s53
	v_add_u32_e32 v10, 1, v7
	v_sub_u32_e32 v8, v9, v8
	v_subrev_u32_e32 v9, s53, v8
	v_cmp_le_u32_e32 vcc, s53, v8
	v_cndmask_b32_e32 v8, v8, v9, vcc
	v_cndmask_b32_e32 v7, v7, v10, vcc
	v_add_u32_e32 v9, 1, v7
	v_cmp_le_u32_e32 vcc, s53, v8
	v_cndmask_b32_e32 v7, v7, v9, vcc
	v_mov_b32_e32 v8, v2
.LBB2_27:                               ;   in Loop: Header=BB2_19 Depth=2
	s_or_b64 exec, exec, s[4:5]
	v_add_u32_e32 v11, 1, v1
	v_mad_u64_u32 v[9:10], s[4:5], v11, s54, -1
	v_mad_u64_u32 v[10:11], s[4:5], v11, s50, v[10:11]
	v_mov_b32_e32 v11, v2
	v_or_b32_e32 v12, s49, v10
	v_cmp_ne_u64_e32 vcc, 0, v[11:12]
                                        ; implicit-def: $vgpr11_vgpr12
	s_and_saveexec_b64 s[4:5], vcc
	s_xor_b64 s[6:7], exec, s[4:5]
	s_cbranch_execz .LBB2_29
; %bb.28:                               ;   in Loop: Header=BB2_19 Depth=2
	s_ashr_i32 s8, s49, 31
	s_add_u32 s4, s53, s8
	s_mov_b32 s9, s8
	s_addc_u32 s5, s49, s8
	s_xor_b64 s[30:31], s[4:5], s[8:9]
	v_cvt_f32_u32_e32 v11, s30
	v_cvt_f32_u32_e32 v12, s31
	s_sub_u32 s9, 0, s30
	s_subb_u32 s23, 0, s31
	v_ashrrev_i32_e32 v13, 31, v10
	v_mac_f32_e32 v11, 0x4f800000, v12
	v_rcp_f32_e32 v11, v11
	v_add_co_u32_e32 v9, vcc, v9, v13
	v_xor_b32_e32 v23, v9, v13
	v_mul_f32_e32 v11, 0x5f7ffffc, v11
	v_mul_f32_e32 v12, 0x2f800000, v11
	v_trunc_f32_e32 v12, v12
	v_mac_f32_e32 v11, 0xcf800000, v12
	v_cvt_u32_f32_e32 v12, v12
	v_cvt_u32_f32_e32 v11, v11
	v_readfirstlane_b32 s25, v12
	v_readfirstlane_b32 s4, v11
	s_mul_i32 s5, s9, s25
	s_mul_hi_u32 s35, s9, s4
	s_mul_i32 s34, s23, s4
	s_add_i32 s5, s35, s5
	s_add_i32 s5, s5, s34
	s_mul_i32 s36, s9, s4
	s_mul_i32 s35, s4, s5
	s_mul_hi_u32 s37, s4, s36
	s_mul_hi_u32 s34, s4, s5
	s_add_u32 s35, s37, s35
	s_addc_u32 s34, 0, s34
	s_mul_hi_u32 s38, s25, s36
	s_mul_i32 s36, s25, s36
	s_add_u32 s35, s35, s36
	s_mul_hi_u32 s37, s25, s5
	s_addc_u32 s34, s34, s38
	s_addc_u32 s35, s37, 0
	s_mul_i32 s5, s25, s5
	s_add_u32 s5, s34, s5
	s_addc_u32 s34, 0, s35
	s_add_u32 s35, s4, s5
	s_cselect_b64 s[4:5], -1, 0
	s_cmp_lg_u64 s[4:5], 0
	s_addc_u32 s25, s25, s34
	s_mul_i32 s4, s9, s25
	s_mul_hi_u32 s5, s9, s35
	s_add_i32 s4, s5, s4
	s_mul_i32 s23, s23, s35
	s_add_i32 s4, s4, s23
	s_mul_i32 s9, s9, s35
	s_mul_hi_u32 s23, s25, s9
	s_mul_i32 s34, s25, s9
	s_mul_i32 s37, s35, s4
	s_mul_hi_u32 s9, s35, s9
	s_mul_hi_u32 s36, s35, s4
	s_add_u32 s9, s9, s37
	s_addc_u32 s36, 0, s36
	s_add_u32 s9, s9, s34
	s_mul_hi_u32 s5, s25, s4
	s_addc_u32 s9, s36, s23
	s_addc_u32 s5, s5, 0
	s_mul_i32 s4, s25, s4
	s_add_u32 s4, s9, s4
	s_addc_u32 s9, 0, s5
	s_add_u32 s23, s35, s4
	s_cselect_b64 s[4:5], -1, 0
	s_cmp_lg_u64 s[4:5], 0
	s_addc_u32 s9, s25, s9
	v_addc_co_u32_e32 v11, vcc, v10, v13, vcc
	v_mad_u64_u32 v[9:10], s[4:5], v23, s9, 0
	v_mul_hi_u32 v12, v23, s23
	v_xor_b32_e32 v24, v11, v13
	v_add_co_u32_e32 v25, vcc, v12, v9
	v_addc_co_u32_e32 v26, vcc, 0, v10, vcc
	v_mad_u64_u32 v[9:10], s[4:5], v24, s23, 0
	v_mad_u64_u32 v[11:12], s[4:5], v24, s9, 0
	v_add_co_u32_e32 v9, vcc, v25, v9
	v_addc_co_u32_e32 v9, vcc, v26, v10, vcc
	v_addc_co_u32_e32 v10, vcc, 0, v12, vcc
	v_add_co_u32_e32 v11, vcc, v9, v11
	v_addc_co_u32_e32 v9, vcc, 0, v10, vcc
	v_mul_lo_u32 v12, s31, v11
	v_mul_lo_u32 v25, s30, v9
	v_mad_u64_u32 v[9:10], s[4:5], s30, v11, 0
	v_add3_u32 v10, v10, v25, v12
	v_sub_u32_e32 v12, v24, v10
	v_mov_b32_e32 v25, s31
	v_sub_co_u32_e32 v9, vcc, v23, v9
	v_subb_co_u32_e64 v12, s[4:5], v12, v25, vcc
	v_subrev_co_u32_e64 v23, s[4:5], s30, v9
	v_subbrev_co_u32_e64 v12, s[4:5], 0, v12, s[4:5]
	v_cmp_le_u32_e64 s[4:5], s31, v12
	v_subb_co_u32_e32 v10, vcc, v24, v10, vcc
	v_cndmask_b32_e64 v25, 0, -1, s[4:5]
	v_cmp_le_u32_e64 s[4:5], s30, v23
	v_cmp_le_u32_e32 vcc, s31, v10
	v_cndmask_b32_e64 v23, 0, -1, s[4:5]
	v_cmp_eq_u32_e64 s[4:5], s31, v12
	v_cndmask_b32_e64 v24, 0, -1, vcc
	v_cmp_le_u32_e32 vcc, s30, v9
	v_cndmask_b32_e64 v12, v25, v23, s[4:5]
	v_cndmask_b32_e64 v9, 0, -1, vcc
	v_cmp_eq_u32_e32 vcc, s31, v10
	v_add_co_u32_e64 v23, s[4:5], 2, v11
	v_add_co_u32_e64 v25, s[4:5], 1, v11
	v_cndmask_b32_e32 v9, v24, v9, vcc
	v_cmp_ne_u32_e32 vcc, 0, v12
	v_cndmask_b32_e32 v10, v25, v23, vcc
	v_cmp_ne_u32_e32 vcc, 0, v9
	v_cndmask_b32_e32 v9, v11, v10, vcc
	v_xor_b32_e32 v10, s8, v13
	v_xor_b32_e32 v9, v9, v10
	v_sub_co_u32_e32 v11, vcc, v9, v10
                                        ; implicit-def: $vgpr13
                                        ; implicit-def: $vgpr9_vgpr10
.LBB2_29:                               ;   in Loop: Header=BB2_19 Depth=2
	s_andn2_saveexec_b64 s[4:5], s[6:7]
	s_cbranch_execz .LBB2_31
; %bb.30:                               ;   in Loop: Header=BB2_19 Depth=2
	v_rcp_iflag_f32_e32 v10, v13
	s_sub_i32 s6, 0, s53
	v_mul_f32_e32 v10, 0x4f7ffffe, v10
	v_cvt_u32_f32_e32 v10, v10
	v_mul_lo_u32 v11, s6, v10
	v_mul_hi_u32 v11, v10, v11
	v_add_u32_e32 v10, v10, v11
	v_mul_hi_u32 v10, v9, v10
	v_mul_lo_u32 v11, v10, s53
	v_add_u32_e32 v12, 1, v10
	v_sub_u32_e32 v9, v9, v11
	v_subrev_u32_e32 v11, s53, v9
	v_cmp_le_u32_e32 vcc, s53, v9
	v_cndmask_b32_e32 v9, v9, v11, vcc
	v_cndmask_b32_e32 v10, v10, v12, vcc
	v_add_u32_e32 v11, 1, v10
	v_cmp_le_u32_e32 vcc, s53, v9
	v_cndmask_b32_e32 v11, v10, v11, vcc
.LBB2_31:                               ;   in Loop: Header=BB2_19 Depth=2
	s_or_b64 exec, exec, s[4:5]
	v_mad_u64_u32 v[12:13], s[4:5], v6, s54, v[7:8]
	v_mov_b32_e32 v13, 0xfffffc00
	v_add_u32_e32 v8, v22, v12
	s_and_saveexec_b64 s[30:31], s[2:3]
	s_cbranch_execz .LBB2_18
; %bb.32:                               ;   in Loop: Header=BB2_19 Depth=2
	v_sub_u32_e32 v9, v11, v12
	v_ashrrev_i32_e32 v11, 31, v12
	v_add_u32_e32 v23, 1, v9
	v_mad_u64_u32 v[9:10], s[4:5], s18, v12, v[3:4]
	v_mul_lo_u32 v12, s19, v12
	v_mul_lo_u32 v11, s18, v11
	v_add_u32_e32 v6, v5, v6
	v_mad_u64_u32 v[6:7], s[4:5], s13, v6, v[7:8]
	s_mov_b32 s23, 0
	v_cmp_lt_i32_e32 vcc, 0, v23
	v_add3_u32 v10, v12, v10, v11
	v_mov_b32_e32 v13, 0xfffffc00
	s_mov_b64 s[34:35], 0
	s_branch .LBB2_34
.LBB2_33:                               ;   in Loop: Header=BB2_34 Depth=3
	s_or_b64 exec, exec, s[36:37]
	v_mov_b32_e32 v7, s17
	v_add_co_u32_e64 v9, s[4:5], s16, v9
	s_add_i32 s23, s23, 1
	v_addc_co_u32_e64 v10, s[4:5], v10, v7, s[4:5]
	v_cmp_ge_i32_e64 s[4:5], s23, v17
	s_or_b64 s[34:35], s[4:5], s[34:35]
	v_add_u32_e32 v6, s13, v6
	s_andn2_b64 exec, exec, s[34:35]
	s_cbranch_execz .LBB2_17
.LBB2_34:                               ;   Parent Loop BB2_3 Depth=1
                                        ;     Parent Loop BB2_19 Depth=2
                                        ; =>    This Loop Header: Depth=3
                                        ;         Child Loop BB2_36 Depth 4
	s_and_saveexec_b64 s[36:37], vcc
	s_cbranch_execz .LBB2_33
; %bb.35:                               ;   in Loop: Header=BB2_34 Depth=3
	v_mov_b32_e32 v12, v10
	s_mov_b32 s25, 0
	s_mov_b64 s[38:39], 0
	v_mov_b32_e32 v11, v9
.LBB2_36:                               ;   Parent Loop BB2_3 Depth=1
                                        ;     Parent Loop BB2_19 Depth=2
                                        ;       Parent Loop BB2_34 Depth=3
                                        ; =>      This Inner Loop Header: Depth=4
	global_load_ushort v7, v[11:12], off
	v_mov_b32_e32 v25, s19
	v_add_co_u32_e64 v11, s[4:5], s18, v11
	v_add_u32_e32 v24, s25, v6
	s_add_i32 s25, s25, 1
	v_addc_co_u32_e64 v12, s[4:5], v12, v25, s[4:5]
	v_cmp_ge_i32_e64 s[4:5], s25, v23
	s_waitcnt vmcnt(0)
	v_cmp_gt_f16_e64 s[6:7], v7, v13
	v_cmp_u_f16_e64 s[8:9], v7, v7
	s_or_b64 s[6:7], s[6:7], s[8:9]
	v_cndmask_b32_e64 v13, v13, v7, s[6:7]
	s_or_b64 s[38:39], s[4:5], s[38:39]
	v_cndmask_b32_e64 v8, v8, v24, s[6:7]
	s_andn2_b64 exec, exec, s[38:39]
	s_cbranch_execnz .LBB2_36
; %bb.37:                               ;   in Loop: Header=BB2_34 Depth=3
	s_or_b64 exec, exec, s[38:39]
	s_branch .LBB2_33
.LBB2_38:
	s_endpgm
	.section	.rodata,"a",@progbits
	.p2align	6, 0x0
	.amdhsa_kernel _ZN2at6native12_GLOBAL__N_115adaptivemaxpoolIN3c104HalfEEEvPKT_PS5_Pliiiilll
		.amdhsa_group_segment_fixed_size 0
		.amdhsa_private_segment_fixed_size 0
		.amdhsa_kernarg_size 320
		.amdhsa_user_sgpr_count 6
		.amdhsa_user_sgpr_private_segment_buffer 1
		.amdhsa_user_sgpr_dispatch_ptr 0
		.amdhsa_user_sgpr_queue_ptr 0
		.amdhsa_user_sgpr_kernarg_segment_ptr 1
		.amdhsa_user_sgpr_dispatch_id 0
		.amdhsa_user_sgpr_flat_scratch_init 0
		.amdhsa_user_sgpr_private_segment_size 0
		.amdhsa_uses_dynamic_stack 0
		.amdhsa_system_sgpr_private_segment_wavefront_offset 0
		.amdhsa_system_sgpr_workgroup_id_x 1
		.amdhsa_system_sgpr_workgroup_id_y 1
		.amdhsa_system_sgpr_workgroup_id_z 0
		.amdhsa_system_sgpr_workgroup_info 0
		.amdhsa_system_vgpr_workitem_id 1
		.amdhsa_next_free_vgpr 28
		.amdhsa_next_free_sgpr 55
		.amdhsa_reserve_vcc 1
		.amdhsa_reserve_flat_scratch 0
		.amdhsa_float_round_mode_32 0
		.amdhsa_float_round_mode_16_64 0
		.amdhsa_float_denorm_mode_32 3
		.amdhsa_float_denorm_mode_16_64 3
		.amdhsa_dx10_clamp 1
		.amdhsa_ieee_mode 1
		.amdhsa_fp16_overflow 0
		.amdhsa_exception_fp_ieee_invalid_op 0
		.amdhsa_exception_fp_denorm_src 0
		.amdhsa_exception_fp_ieee_div_zero 0
		.amdhsa_exception_fp_ieee_overflow 0
		.amdhsa_exception_fp_ieee_underflow 0
		.amdhsa_exception_fp_ieee_inexact 0
		.amdhsa_exception_int_div_zero 0
	.end_amdhsa_kernel
	.section	.text._ZN2at6native12_GLOBAL__N_115adaptivemaxpoolIN3c104HalfEEEvPKT_PS5_Pliiiilll,"axG",@progbits,_ZN2at6native12_GLOBAL__N_115adaptivemaxpoolIN3c104HalfEEEvPKT_PS5_Pliiiilll,comdat
.Lfunc_end2:
	.size	_ZN2at6native12_GLOBAL__N_115adaptivemaxpoolIN3c104HalfEEEvPKT_PS5_Pliiiilll, .Lfunc_end2-_ZN2at6native12_GLOBAL__N_115adaptivemaxpoolIN3c104HalfEEEvPKT_PS5_Pliiiilll
                                        ; -- End function
	.set _ZN2at6native12_GLOBAL__N_115adaptivemaxpoolIN3c104HalfEEEvPKT_PS5_Pliiiilll.num_vgpr, 28
	.set _ZN2at6native12_GLOBAL__N_115adaptivemaxpoolIN3c104HalfEEEvPKT_PS5_Pliiiilll.num_agpr, 0
	.set _ZN2at6native12_GLOBAL__N_115adaptivemaxpoolIN3c104HalfEEEvPKT_PS5_Pliiiilll.numbered_sgpr, 55
	.set _ZN2at6native12_GLOBAL__N_115adaptivemaxpoolIN3c104HalfEEEvPKT_PS5_Pliiiilll.num_named_barrier, 0
	.set _ZN2at6native12_GLOBAL__N_115adaptivemaxpoolIN3c104HalfEEEvPKT_PS5_Pliiiilll.private_seg_size, 0
	.set _ZN2at6native12_GLOBAL__N_115adaptivemaxpoolIN3c104HalfEEEvPKT_PS5_Pliiiilll.uses_vcc, 1
	.set _ZN2at6native12_GLOBAL__N_115adaptivemaxpoolIN3c104HalfEEEvPKT_PS5_Pliiiilll.uses_flat_scratch, 0
	.set _ZN2at6native12_GLOBAL__N_115adaptivemaxpoolIN3c104HalfEEEvPKT_PS5_Pliiiilll.has_dyn_sized_stack, 0
	.set _ZN2at6native12_GLOBAL__N_115adaptivemaxpoolIN3c104HalfEEEvPKT_PS5_Pliiiilll.has_recursion, 0
	.set _ZN2at6native12_GLOBAL__N_115adaptivemaxpoolIN3c104HalfEEEvPKT_PS5_Pliiiilll.has_indirect_call, 0
	.section	.AMDGPU.csdata,"",@progbits
; Kernel info:
; codeLenInByte = 4812
; TotalNumSgprs: 59
; NumVgprs: 28
; ScratchSize: 0
; MemoryBound: 0
; FloatMode: 240
; IeeeMode: 1
; LDSByteSize: 0 bytes/workgroup (compile time only)
; SGPRBlocks: 7
; VGPRBlocks: 6
; NumSGPRsForWavesPerEU: 59
; NumVGPRsForWavesPerEU: 28
; Occupancy: 9
; WaveLimiterHint : 0
; COMPUTE_PGM_RSRC2:SCRATCH_EN: 0
; COMPUTE_PGM_RSRC2:USER_SGPR: 6
; COMPUTE_PGM_RSRC2:TRAP_HANDLER: 0
; COMPUTE_PGM_RSRC2:TGID_X_EN: 1
; COMPUTE_PGM_RSRC2:TGID_Y_EN: 1
; COMPUTE_PGM_RSRC2:TGID_Z_EN: 0
; COMPUTE_PGM_RSRC2:TIDIG_COMP_CNT: 1
	.section	.text._ZN2at6native12_GLOBAL__N_115adaptivemaxpoolIN3c108BFloat16EEEvPKT_PS5_Pliiiilll,"axG",@progbits,_ZN2at6native12_GLOBAL__N_115adaptivemaxpoolIN3c108BFloat16EEEvPKT_PS5_Pliiiilll,comdat
	.globl	_ZN2at6native12_GLOBAL__N_115adaptivemaxpoolIN3c108BFloat16EEEvPKT_PS5_Pliiiilll ; -- Begin function _ZN2at6native12_GLOBAL__N_115adaptivemaxpoolIN3c108BFloat16EEEvPKT_PS5_Pliiiilll
	.p2align	8
	.type	_ZN2at6native12_GLOBAL__N_115adaptivemaxpoolIN3c108BFloat16EEEvPKT_PS5_Pliiiilll,@function
_ZN2at6native12_GLOBAL__N_115adaptivemaxpoolIN3c108BFloat16EEEvPKT_PS5_Pliiiilll: ; @_ZN2at6native12_GLOBAL__N_115adaptivemaxpoolIN3c108BFloat16EEEvPKT_PS5_Pliiiilll
; %bb.0:
	s_load_dword s10, s[4:5], 0x4c
	s_load_dwordx4 s[12:15], s[4:5], 0x18
	s_add_u32 s8, s4, 64
	s_addc_u32 s9, s5, 0
	s_waitcnt lgkmcnt(0)
	s_lshr_b32 s11, s10, 16
	s_mul_i32 s7, s7, s11
	v_add_u32_e32 v14, s7, v1
	v_cmp_gt_i32_e32 vcc, s14, v14
	s_and_saveexec_b64 s[0:1], vcc
	s_cbranch_execz .LBB3_38
; %bb.1:
	s_load_dword s40, s[8:9], 0x4
	s_load_dwordx4 s[16:19], s[4:5], 0x0
	s_load_dwordx2 s[20:21], s[4:5], 0x10
	s_load_dwordx4 s[0:3], s[4:5], 0x28
	s_load_dwordx2 s[22:23], s[4:5], 0x38
	s_mul_i32 s4, s14, s6
	s_mul_i32 s4, s4, s15
	s_ashr_i32 s5, s4, 31
	s_and_b32 s33, s10, 0xffff
	s_lshl_b64 s[8:9], s[4:5], 1
	s_waitcnt lgkmcnt(0)
	s_add_u32 s41, s18, s8
	s_addc_u32 s42, s19, s9
	s_ashr_i32 s7, s6, 31
	s_lshl_b64 s[4:5], s[4:5], 3
	s_add_u32 s43, s20, s4
	s_addc_u32 s44, s21, s5
	s_mul_hi_u32 s4, s0, s6
	s_mul_i32 s5, s0, s7
	s_add_i32 s4, s4, s5
	s_mul_i32 s1, s1, s6
	s_add_i32 s1, s4, s1
	s_mul_i32 s0, s0, s6
	s_ashr_i32 s45, s14, 31
	s_ashr_i32 s47, s12, 31
	;; [unrolled: 1-line block ×4, first 2 shown]
	s_lshl_b64 s[0:1], s[0:1], 1
	s_add_u32 s10, s16, s0
	s_mul_i32 s40, s40, s11
	s_addc_u32 s11, s17, s1
	s_ashr_i32 s51, s14, 31
	s_add_i32 s0, s14, s51
	s_xor_b32 s52, s0, s51
	s_mov_b32 s46, s14
	v_cvt_f32_u32_e32 v1, s52
	v_cvt_f32_u32_e32 v2, s46
	s_lshl_b64 s[16:17], s[2:3], 1
	s_sub_i32 s2, 0, s52
	v_rcp_iflag_f32_e32 v1, v1
	v_rcp_iflag_f32_e32 v2, v2
	s_mov_b32 s48, s12
	v_cmp_gt_i32_e64 s[0:1], s15, v0
	v_mul_f32_e32 v1, 0x4f7ffffe, v1
	v_cvt_u32_f32_e32 v1, v1
	v_mul_f32_e32 v2, 0x4f7ffffe, v2
	v_cvt_u32_f32_e32 v3, v2
	s_mov_b32 s53, s15
	v_mul_lo_u32 v2, s2, v1
	s_sub_i32 s2, 0, s14
	v_mul_lo_u32 v4, s2, v3
	s_mov_b32 s54, s13
	v_mul_hi_u32 v5, v1, v2
	s_lshl_b64 s[18:19], s[22:23], 1
	v_mul_hi_u32 v4, v3, v4
	s_mov_b64 s[20:21], 0
	v_mov_b32_e32 v2, 0
	s_mov_b32 s22, 0
	v_add_u32_e32 v15, v1, v5
	v_add_u32_e32 v16, v3, v4
	s_ashr_i32 s24, s45, 31
	s_branch .LBB3_3
.LBB3_2:                                ;   in Loop: Header=BB3_3 Depth=1
	s_or_b64 exec, exec, s[26:27]
	v_add_u32_e32 v14, s40, v14
	v_cmp_le_i32_e32 vcc, s14, v14
	s_or_b64 s[20:21], vcc, s[20:21]
	s_andn2_b64 exec, exec, s[20:21]
	s_cbranch_execz .LBB3_38
.LBB3_3:                                ; =>This Loop Header: Depth=1
                                        ;     Child Loop BB3_19 Depth 2
                                        ;       Child Loop BB3_34 Depth 3
                                        ;         Child Loop BB3_36 Depth 4
	v_ashrrev_i32_e32 v8, 31, v14
	v_or_b32_e32 v4, s45, v8
	v_mov_b32_e32 v3, v2
	v_cmp_ne_u64_e32 vcc, 0, v[3:4]
                                        ; implicit-def: $vgpr5_vgpr6
	s_and_saveexec_b64 s[2:3], vcc
	s_xor_b64 s[2:3], exec, s[2:3]
	s_cbranch_execz .LBB3_5
; %bb.4:                                ;   in Loop: Header=BB3_3 Depth=1
	v_ashrrev_i32_e32 v1, 31, v14
	v_add_u32_e32 v3, v14, v1
	v_xor_b32_e32 v3, v3, v1
	v_mul_hi_u32 v4, v3, v15
	v_xor_b32_e32 v1, s51, v1
	v_mul_lo_u32 v5, v4, s52
	v_add_u32_e32 v6, 1, v4
	v_sub_u32_e32 v3, v3, v5
	v_subrev_u32_e32 v5, s52, v3
	v_cmp_le_u32_e32 vcc, s52, v3
	v_cndmask_b32_e32 v3, v3, v5, vcc
	v_cndmask_b32_e32 v4, v4, v6, vcc
	v_add_u32_e32 v5, 1, v4
	v_cmp_le_u32_e32 vcc, s52, v3
	v_cndmask_b32_e32 v3, v4, v5, vcc
	v_xor_b32_e32 v3, v3, v1
	v_sub_u32_e32 v5, v3, v1
	v_ashrrev_i32_e32 v6, 31, v5
.LBB3_5:                                ;   in Loop: Header=BB3_3 Depth=1
	s_andn2_saveexec_b64 s[2:3], s[2:3]
	s_cbranch_execz .LBB3_7
; %bb.6:                                ;   in Loop: Header=BB3_3 Depth=1
	v_mul_hi_u32 v1, v14, v16
	v_mul_lo_u32 v3, v1, s46
	v_add_u32_e32 v4, 1, v1
	v_sub_u32_e32 v3, v14, v3
	v_subrev_u32_e32 v5, s46, v3
	v_cmp_le_u32_e32 vcc, s46, v3
	v_cndmask_b32_e32 v3, v3, v5, vcc
	v_cndmask_b32_e32 v1, v1, v4, vcc
	v_add_u32_e32 v4, 1, v1
	v_cmp_le_u32_e32 vcc, s46, v3
	v_cndmask_b32_e32 v1, v1, v4, vcc
	v_mov_b32_e32 v6, v2
	v_mov_b32_e32 v5, v1
.LBB3_7:                                ;   in Loop: Header=BB3_3 Depth=1
	s_or_b64 exec, exec, s[2:3]
	v_mul_lo_u32 v1, v6, s46
	v_mul_lo_u32 v6, v5, s45
	v_mad_u64_u32 v[3:4], s[2:3], v5, s46, 0
	v_add3_u32 v1, v4, v6, v1
	v_sub_co_u32_e32 v3, vcc, v14, v3
	v_subb_co_u32_e32 v1, vcc, v8, v1, vcc
	v_mul_lo_u32 v1, v1, s48
	v_mul_lo_u32 v6, v3, s47
	v_mad_u64_u32 v[3:4], s[2:3], v3, s48, 0
	v_add3_u32 v4, v4, v6, v1
	v_or_b32_e32 v7, s45, v4
	v_mov_b32_e32 v6, v2
	v_cmp_ne_u64_e32 vcc, 0, v[6:7]
                                        ; implicit-def: $vgpr6_vgpr7
	s_and_saveexec_b64 s[2:3], vcc
	s_xor_b64 s[4:5], exec, s[2:3]
	s_cbranch_execz .LBB3_9
; %bb.8:                                ;   in Loop: Header=BB3_3 Depth=1
	s_add_u32 s2, s46, s24
	s_mov_b32 s25, s24
	s_addc_u32 s3, s45, s24
	s_xor_b64 s[6:7], s[2:3], s[24:25]
	v_cvt_f32_u32_e32 v1, s6
	v_cvt_f32_u32_e32 v6, s7
	s_sub_u32 s8, 0, s6
	s_subb_u32 s9, 0, s7
	v_mac_f32_e32 v1, 0x4f800000, v6
	v_rcp_f32_e32 v1, v1
	v_mul_f32_e32 v1, 0x5f7ffffc, v1
	v_mul_f32_e32 v6, 0x2f800000, v1
	v_trunc_f32_e32 v6, v6
	v_mac_f32_e32 v1, 0xcf800000, v6
	v_cvt_u32_f32_e32 v6, v6
	v_cvt_u32_f32_e32 v1, v1
	v_readfirstlane_b32 s23, v6
	v_readfirstlane_b32 s2, v1
	s_mul_i32 s3, s8, s23
	s_mul_hi_u32 s26, s8, s2
	s_mul_i32 s25, s9, s2
	s_add_i32 s3, s26, s3
	s_add_i32 s3, s3, s25
	s_mul_i32 s27, s8, s2
	s_mul_i32 s26, s2, s3
	s_mul_hi_u32 s28, s2, s27
	s_mul_hi_u32 s25, s2, s3
	s_add_u32 s26, s28, s26
	s_addc_u32 s25, 0, s25
	s_mul_hi_u32 s29, s23, s27
	s_mul_i32 s27, s23, s27
	s_add_u32 s26, s26, s27
	s_mul_hi_u32 s28, s23, s3
	s_addc_u32 s25, s25, s29
	s_addc_u32 s26, s28, 0
	s_mul_i32 s3, s23, s3
	s_add_u32 s3, s25, s3
	s_addc_u32 s25, 0, s26
	s_add_u32 s26, s2, s3
	s_cselect_b64 s[2:3], -1, 0
	s_cmp_lg_u64 s[2:3], 0
	s_addc_u32 s23, s23, s25
	s_mul_i32 s2, s8, s23
	s_mul_hi_u32 s3, s8, s26
	s_add_i32 s2, s3, s2
	s_mul_i32 s9, s9, s26
	s_add_i32 s2, s2, s9
	s_mul_i32 s8, s8, s26
	s_mul_hi_u32 s9, s23, s8
	s_mul_i32 s25, s23, s8
	s_mul_i32 s28, s26, s2
	s_mul_hi_u32 s8, s26, s8
	s_mul_hi_u32 s27, s26, s2
	s_add_u32 s8, s8, s28
	s_addc_u32 s27, 0, s27
	s_add_u32 s8, s8, s25
	s_mul_hi_u32 s3, s23, s2
	s_addc_u32 s8, s27, s9
	s_addc_u32 s3, s3, 0
	s_mul_i32 s2, s23, s2
	s_add_u32 s2, s8, s2
	s_addc_u32 s8, 0, s3
	s_add_u32 s9, s26, s2
	s_cselect_b64 s[2:3], -1, 0
	v_ashrrev_i32_e32 v1, 31, v4
	s_cmp_lg_u64 s[2:3], 0
	v_add_co_u32_e32 v3, vcc, v3, v1
	s_addc_u32 s8, s23, s8
	v_xor_b32_e32 v9, v3, v1
	v_addc_co_u32_e32 v6, vcc, v4, v1, vcc
	v_mad_u64_u32 v[3:4], s[2:3], v9, s8, 0
	v_mul_hi_u32 v7, v9, s9
	v_xor_b32_e32 v10, v6, v1
	v_xor_b32_e32 v1, s24, v1
	v_add_co_u32_e32 v11, vcc, v7, v3
	v_addc_co_u32_e32 v12, vcc, 0, v4, vcc
	v_mad_u64_u32 v[3:4], s[2:3], v10, s9, 0
	v_mad_u64_u32 v[6:7], s[2:3], v10, s8, 0
	v_add_co_u32_e32 v3, vcc, v11, v3
	v_addc_co_u32_e32 v3, vcc, v12, v4, vcc
	v_addc_co_u32_e32 v4, vcc, 0, v7, vcc
	v_add_co_u32_e32 v6, vcc, v3, v6
	v_addc_co_u32_e32 v7, vcc, 0, v4, vcc
	v_mul_lo_u32 v11, s7, v6
	v_mul_lo_u32 v12, s6, v7
	v_mad_u64_u32 v[3:4], s[2:3], s6, v6, 0
	v_add3_u32 v4, v4, v12, v11
	v_sub_u32_e32 v11, v10, v4
	v_mov_b32_e32 v12, s7
	v_sub_co_u32_e32 v3, vcc, v9, v3
	v_subb_co_u32_e64 v9, s[2:3], v11, v12, vcc
	v_subrev_co_u32_e64 v11, s[2:3], s6, v3
	v_subbrev_co_u32_e64 v9, s[2:3], 0, v9, s[2:3]
	v_cmp_le_u32_e64 s[2:3], s7, v9
	v_cndmask_b32_e64 v12, 0, -1, s[2:3]
	v_cmp_le_u32_e64 s[2:3], s6, v11
	v_cndmask_b32_e64 v11, 0, -1, s[2:3]
	v_cmp_eq_u32_e64 s[2:3], s7, v9
	v_cndmask_b32_e64 v9, v12, v11, s[2:3]
	v_add_co_u32_e64 v11, s[2:3], 2, v6
	v_subb_co_u32_e32 v4, vcc, v10, v4, vcc
	v_addc_co_u32_e64 v12, s[2:3], 0, v7, s[2:3]
	v_cmp_le_u32_e32 vcc, s7, v4
	v_add_co_u32_e64 v13, s[2:3], 1, v6
	v_cndmask_b32_e64 v10, 0, -1, vcc
	v_cmp_le_u32_e32 vcc, s6, v3
	v_addc_co_u32_e64 v17, s[2:3], 0, v7, s[2:3]
	v_cndmask_b32_e64 v3, 0, -1, vcc
	v_cmp_eq_u32_e32 vcc, s7, v4
	v_cmp_ne_u32_e64 s[2:3], 0, v9
	v_cndmask_b32_e32 v3, v10, v3, vcc
	v_cmp_ne_u32_e32 vcc, 0, v3
	v_cndmask_b32_e64 v4, v13, v11, s[2:3]
	v_cndmask_b32_e64 v9, v17, v12, s[2:3]
	v_cndmask_b32_e32 v4, v6, v4, vcc
	v_cndmask_b32_e32 v3, v7, v9, vcc
	v_xor_b32_e32 v4, v4, v1
	v_xor_b32_e32 v3, v3, v1
	v_sub_co_u32_e32 v6, vcc, v4, v1
	v_subb_co_u32_e32 v7, vcc, v3, v1, vcc
                                        ; implicit-def: $vgpr3_vgpr4
.LBB3_9:                                ;   in Loop: Header=BB3_3 Depth=1
	s_andn2_saveexec_b64 s[2:3], s[4:5]
	s_cbranch_execz .LBB3_11
; %bb.10:                               ;   in Loop: Header=BB3_3 Depth=1
	v_mul_hi_u32 v1, v3, v16
	v_mul_lo_u32 v4, v1, s46
	v_add_u32_e32 v6, 1, v1
	v_sub_u32_e32 v3, v3, v4
	v_subrev_u32_e32 v4, s46, v3
	v_cmp_le_u32_e32 vcc, s46, v3
	v_cndmask_b32_e32 v3, v3, v4, vcc
	v_cndmask_b32_e32 v1, v1, v6, vcc
	v_add_u32_e32 v4, 1, v1
	v_cmp_le_u32_e32 vcc, s46, v3
	v_cndmask_b32_e32 v1, v1, v4, vcc
	v_mov_b32_e32 v7, v2
	v_mov_b32_e32 v6, v1
.LBB3_11:                               ;   in Loop: Header=BB3_3 Depth=1
	s_or_b64 exec, exec, s[2:3]
	v_add_co_u32_e32 v1, vcc, 1, v14
	v_addc_co_u32_e32 v3, vcc, 0, v8, vcc
	v_mul_lo_u32 v8, v1, s47
	v_mul_lo_u32 v9, v3, s48
	v_mad_u64_u32 v[3:4], s[2:3], v1, s48, -1
	v_add3_u32 v4, v9, v4, v8
	v_or_b32_e32 v9, s45, v4
	v_mov_b32_e32 v8, v2
	v_cmp_ne_u64_e32 vcc, 0, v[8:9]
                                        ; implicit-def: $vgpr8_vgpr9
	s_and_saveexec_b64 s[2:3], vcc
	s_xor_b64 s[4:5], exec, s[2:3]
	s_cbranch_execnz .LBB3_14
; %bb.12:                               ;   in Loop: Header=BB3_3 Depth=1
	s_andn2_saveexec_b64 s[2:3], s[4:5]
	s_cbranch_execnz .LBB3_15
.LBB3_13:                               ;   in Loop: Header=BB3_3 Depth=1
	s_or_b64 exec, exec, s[2:3]
	s_and_saveexec_b64 s[26:27], s[0:1]
	s_cbranch_execz .LBB3_2
	s_branch .LBB3_16
.LBB3_14:                               ;   in Loop: Header=BB3_3 Depth=1
	s_add_u32 s2, s46, s24
	s_mov_b32 s25, s24
	s_addc_u32 s3, s45, s24
	s_xor_b64 s[6:7], s[2:3], s[24:25]
	v_cvt_f32_u32_e32 v1, s6
	v_cvt_f32_u32_e32 v8, s7
	s_sub_u32 s8, 0, s6
	s_subb_u32 s9, 0, s7
	v_mac_f32_e32 v1, 0x4f800000, v8
	v_rcp_f32_e32 v1, v1
	v_mul_f32_e32 v1, 0x5f7ffffc, v1
	v_mul_f32_e32 v8, 0x2f800000, v1
	v_trunc_f32_e32 v8, v8
	v_mac_f32_e32 v1, 0xcf800000, v8
	v_cvt_u32_f32_e32 v8, v8
	v_cvt_u32_f32_e32 v1, v1
	v_readfirstlane_b32 s23, v8
	v_readfirstlane_b32 s2, v1
	s_mul_i32 s3, s8, s23
	s_mul_hi_u32 s26, s8, s2
	s_mul_i32 s25, s9, s2
	s_add_i32 s3, s26, s3
	s_add_i32 s3, s3, s25
	s_mul_i32 s27, s8, s2
	s_mul_i32 s26, s2, s3
	s_mul_hi_u32 s28, s2, s27
	s_mul_hi_u32 s25, s2, s3
	s_add_u32 s26, s28, s26
	s_addc_u32 s25, 0, s25
	s_mul_hi_u32 s29, s23, s27
	s_mul_i32 s27, s23, s27
	s_add_u32 s26, s26, s27
	s_mul_hi_u32 s28, s23, s3
	s_addc_u32 s25, s25, s29
	s_addc_u32 s26, s28, 0
	s_mul_i32 s3, s23, s3
	s_add_u32 s3, s25, s3
	s_addc_u32 s25, 0, s26
	s_add_u32 s26, s2, s3
	s_cselect_b64 s[2:3], -1, 0
	s_cmp_lg_u64 s[2:3], 0
	s_addc_u32 s23, s23, s25
	s_mul_i32 s2, s8, s23
	s_mul_hi_u32 s3, s8, s26
	s_add_i32 s2, s3, s2
	s_mul_i32 s9, s9, s26
	s_add_i32 s2, s2, s9
	s_mul_i32 s8, s8, s26
	s_mul_hi_u32 s9, s23, s8
	s_mul_i32 s25, s23, s8
	s_mul_i32 s28, s26, s2
	s_mul_hi_u32 s8, s26, s8
	s_mul_hi_u32 s27, s26, s2
	s_add_u32 s8, s8, s28
	s_addc_u32 s27, 0, s27
	s_add_u32 s8, s8, s25
	s_mul_hi_u32 s3, s23, s2
	s_addc_u32 s8, s27, s9
	s_addc_u32 s3, s3, 0
	s_mul_i32 s2, s23, s2
	s_add_u32 s2, s8, s2
	s_addc_u32 s8, 0, s3
	s_add_u32 s9, s26, s2
	s_cselect_b64 s[2:3], -1, 0
	v_ashrrev_i32_e32 v1, 31, v4
	s_cmp_lg_u64 s[2:3], 0
	v_add_co_u32_e32 v3, vcc, v3, v1
	s_addc_u32 s8, s23, s8
	v_xor_b32_e32 v10, v3, v1
	v_addc_co_u32_e32 v8, vcc, v4, v1, vcc
	v_mad_u64_u32 v[3:4], s[2:3], v10, s8, 0
	v_mul_hi_u32 v9, v10, s9
	v_xor_b32_e32 v11, v8, v1
	v_xor_b32_e32 v1, s24, v1
	v_add_co_u32_e32 v12, vcc, v9, v3
	v_addc_co_u32_e32 v13, vcc, 0, v4, vcc
	v_mad_u64_u32 v[3:4], s[2:3], v11, s9, 0
	v_mad_u64_u32 v[8:9], s[2:3], v11, s8, 0
	v_add_co_u32_e32 v3, vcc, v12, v3
	v_addc_co_u32_e32 v3, vcc, v13, v4, vcc
	v_addc_co_u32_e32 v4, vcc, 0, v9, vcc
	v_add_co_u32_e32 v8, vcc, v3, v8
	v_addc_co_u32_e32 v3, vcc, 0, v4, vcc
	v_mul_lo_u32 v9, s7, v8
	v_mul_lo_u32 v12, s6, v3
	v_mad_u64_u32 v[3:4], s[2:3], s6, v8, 0
	v_add3_u32 v4, v4, v12, v9
	v_sub_u32_e32 v9, v11, v4
	v_mov_b32_e32 v12, s7
	v_sub_co_u32_e32 v3, vcc, v10, v3
	v_subb_co_u32_e64 v9, s[2:3], v9, v12, vcc
	v_subrev_co_u32_e64 v10, s[2:3], s6, v3
	v_subbrev_co_u32_e64 v9, s[2:3], 0, v9, s[2:3]
	v_cmp_le_u32_e64 s[2:3], s7, v9
	v_subb_co_u32_e32 v4, vcc, v11, v4, vcc
	v_cndmask_b32_e64 v12, 0, -1, s[2:3]
	v_cmp_le_u32_e64 s[2:3], s6, v10
	v_cmp_le_u32_e32 vcc, s7, v4
	v_cndmask_b32_e64 v10, 0, -1, s[2:3]
	v_cmp_eq_u32_e64 s[2:3], s7, v9
	v_cndmask_b32_e64 v11, 0, -1, vcc
	v_cmp_le_u32_e32 vcc, s6, v3
	v_cndmask_b32_e64 v9, v12, v10, s[2:3]
	v_cndmask_b32_e64 v3, 0, -1, vcc
	v_cmp_eq_u32_e32 vcc, s7, v4
	v_add_co_u32_e64 v10, s[2:3], 2, v8
	v_add_co_u32_e64 v12, s[2:3], 1, v8
	v_cndmask_b32_e32 v3, v11, v3, vcc
	v_cmp_ne_u32_e32 vcc, 0, v9
	v_cndmask_b32_e32 v4, v12, v10, vcc
	v_cmp_ne_u32_e32 vcc, 0, v3
	v_cndmask_b32_e32 v3, v8, v4, vcc
	v_xor_b32_e32 v3, v3, v1
	v_sub_co_u32_e32 v8, vcc, v3, v1
                                        ; implicit-def: $vgpr3_vgpr4
	s_andn2_saveexec_b64 s[2:3], s[4:5]
	s_cbranch_execz .LBB3_13
.LBB3_15:                               ;   in Loop: Header=BB3_3 Depth=1
	v_mul_hi_u32 v1, v3, v16
	v_mul_lo_u32 v4, v1, s46
	v_add_u32_e32 v8, 1, v1
	v_sub_u32_e32 v3, v3, v4
	v_subrev_u32_e32 v4, s46, v3
	v_cmp_le_u32_e32 vcc, s46, v3
	v_cndmask_b32_e32 v3, v3, v4, vcc
	v_cndmask_b32_e32 v1, v1, v8, vcc
	v_add_u32_e32 v4, 1, v1
	v_cmp_le_u32_e32 vcc, s46, v3
	v_cndmask_b32_e32 v8, v1, v4, vcc
	s_or_b64 exec, exec, s[2:3]
	s_and_saveexec_b64 s[26:27], s[0:1]
	s_cbranch_execz .LBB3_2
.LBB3_16:                               ;   in Loop: Header=BB3_3 Depth=1
	v_mad_u64_u32 v[3:4], s[2:3], v5, s48, v[6:7]
	v_mul_lo_u32 v7, v14, s15
	s_mov_b64 s[28:29], 0
	v_sub_u32_e32 v1, v8, v3
	v_add_u32_e32 v17, 1, v1
	v_ashrrev_i32_e32 v8, 31, v7
	v_lshlrev_b64 v[9:10], 1, v[7:8]
	v_mov_b32_e32 v1, s42
	v_add_co_u32_e32 v18, vcc, s41, v9
	v_lshlrev_b64 v[7:8], 3, v[7:8]
	v_addc_co_u32_e32 v19, vcc, v1, v10, vcc
	v_mov_b32_e32 v1, s44
	v_add_co_u32_e32 v20, vcc, s43, v7
	v_addc_co_u32_e32 v21, vcc, v1, v8, vcc
	v_mov_b32_e32 v7, s10
	v_ashrrev_i32_e32 v4, 31, v3
	v_mov_b32_e32 v8, s11
	v_mul_lo_u32 v22, s13, v3
	v_mul_lo_u32 v1, s16, v4
	v_mul_lo_u32 v9, s17, v3
	v_mad_u64_u32 v[3:4], s[2:3], s16, v3, v[7:8]
	v_mad_u64_u32 v[5:6], s[4:5], s12, v5, v[6:7]
	v_cmp_lt_i32_e64 s[2:3], 0, v17
	v_add3_u32 v4, v9, v4, v1
	v_mov_b32_e32 v1, v0
	s_branch .LBB3_19
.LBB3_17:                               ;   in Loop: Header=BB3_19 Depth=2
	s_or_b64 exec, exec, s[34:35]
.LBB3_18:                               ;   in Loop: Header=BB3_19 Depth=2
	s_or_b64 exec, exec, s[30:31]
	v_lshlrev_b64 v[6:7], 1, v[1:2]
	v_lshlrev_b64 v[9:10], 3, v[1:2]
	v_add_co_u32_e32 v6, vcc, v18, v6
	v_addc_co_u32_e32 v7, vcc, v19, v7, vcc
	v_add_co_u32_e32 v11, vcc, v20, v9
	v_addc_co_u32_e32 v12, vcc, v21, v10, vcc
	v_add_u32_e32 v1, s33, v1
	v_cmp_le_i32_e32 vcc, s15, v1
	v_ashrrev_i32_e32 v9, 31, v8
	s_or_b64 s[28:29], vcc, s[28:29]
	global_store_short v[6:7], v13, off
	global_store_dwordx2 v[11:12], v[8:9], off
	s_andn2_b64 exec, exec, s[28:29]
	s_cbranch_execz .LBB3_2
.LBB3_19:                               ;   Parent Loop BB3_3 Depth=1
                                        ; =>  This Loop Header: Depth=2
                                        ;       Child Loop BB3_34 Depth 3
                                        ;         Child Loop BB3_36 Depth 4
	s_mov_b32 s23, s49
	s_cmp_lg_u64 s[22:23], 0
	s_cselect_b64 s[4:5], -1, 0
                                        ; implicit-def: $vgpr6_vgpr7
	s_and_saveexec_b64 s[6:7], s[4:5]
	s_xor_b64 s[6:7], exec, s[6:7]
	s_cbranch_execz .LBB3_21
; %bb.20:                               ;   in Loop: Header=BB3_19 Depth=2
	s_ashr_i32 s8, s49, 31
	s_add_u32 s4, s53, s8
	s_mov_b32 s9, s8
	s_addc_u32 s5, s49, s8
	s_xor_b64 s[30:31], s[4:5], s[8:9]
	v_cvt_f32_u32_e32 v6, s30
	v_cvt_f32_u32_e32 v7, s31
	s_sub_u32 s9, 0, s30
	s_subb_u32 s23, 0, s31
	v_add_co_u32_e32 v10, vcc, 0, v1
	v_mac_f32_e32 v6, 0x4f800000, v7
	v_rcp_f32_e32 v6, v6
	v_mul_f32_e32 v6, 0x5f7ffffc, v6
	v_mul_f32_e32 v7, 0x2f800000, v6
	v_trunc_f32_e32 v7, v7
	v_mac_f32_e32 v6, 0xcf800000, v7
	v_cvt_u32_f32_e32 v7, v7
	v_cvt_u32_f32_e32 v6, v6
	v_readfirstlane_b32 s25, v7
	v_readfirstlane_b32 s4, v6
	s_mul_i32 s5, s9, s25
	s_mul_hi_u32 s35, s9, s4
	s_mul_i32 s34, s23, s4
	s_add_i32 s5, s35, s5
	s_add_i32 s5, s5, s34
	s_mul_i32 s36, s9, s4
	s_mul_i32 s35, s4, s5
	s_mul_hi_u32 s37, s4, s36
	s_mul_hi_u32 s34, s4, s5
	s_add_u32 s35, s37, s35
	s_addc_u32 s34, 0, s34
	s_mul_hi_u32 s38, s25, s36
	s_mul_i32 s36, s25, s36
	s_add_u32 s35, s35, s36
	s_mul_hi_u32 s37, s25, s5
	s_addc_u32 s34, s34, s38
	s_addc_u32 s35, s37, 0
	s_mul_i32 s5, s25, s5
	s_add_u32 s5, s34, s5
	s_addc_u32 s34, 0, s35
	s_add_u32 s35, s4, s5
	s_cselect_b64 s[4:5], -1, 0
	s_cmp_lg_u64 s[4:5], 0
	s_addc_u32 s25, s25, s34
	s_mul_i32 s4, s9, s25
	s_mul_hi_u32 s5, s9, s35
	s_add_i32 s4, s5, s4
	s_mul_i32 s23, s23, s35
	s_add_i32 s4, s4, s23
	s_mul_i32 s9, s9, s35
	s_mul_hi_u32 s23, s25, s9
	s_mul_i32 s34, s25, s9
	s_mul_i32 s37, s35, s4
	s_mul_hi_u32 s9, s35, s9
	s_mul_hi_u32 s36, s35, s4
	s_add_u32 s9, s9, s37
	s_addc_u32 s36, 0, s36
	s_add_u32 s9, s9, s34
	s_mul_hi_u32 s5, s25, s4
	s_addc_u32 s9, s36, s23
	s_addc_u32 s5, s5, 0
	s_mul_i32 s4, s25, s4
	s_add_u32 s4, s9, s4
	s_addc_u32 s9, 0, s5
	s_add_u32 s23, s35, s4
	s_cselect_b64 s[4:5], -1, 0
	s_cmp_lg_u64 s[4:5], 0
	s_addc_u32 s9, s25, s9
	v_mad_u64_u32 v[6:7], s[4:5], v10, s9, 0
	v_mul_hi_u32 v8, v10, s23
	v_addc_co_u32_e64 v11, s[4:5], 0, 0, vcc
	v_add_co_u32_e32 v12, vcc, v8, v6
	v_addc_co_u32_e32 v13, vcc, 0, v7, vcc
	v_mad_u64_u32 v[6:7], s[4:5], v11, s23, 0
	v_mad_u64_u32 v[8:9], s[4:5], v11, s9, 0
	v_add_co_u32_e32 v6, vcc, v12, v6
	v_addc_co_u32_e32 v6, vcc, v13, v7, vcc
	v_addc_co_u32_e32 v7, vcc, 0, v9, vcc
	v_add_co_u32_e32 v8, vcc, v6, v8
	v_addc_co_u32_e32 v9, vcc, 0, v7, vcc
	v_mul_lo_u32 v12, s31, v8
	v_mul_lo_u32 v13, s30, v9
	v_mad_u64_u32 v[6:7], s[4:5], s30, v8, 0
	v_add3_u32 v7, v7, v13, v12
	v_sub_u32_e32 v12, v11, v7
	v_mov_b32_e32 v13, s31
	v_sub_co_u32_e32 v6, vcc, v10, v6
	v_subb_co_u32_e64 v10, s[4:5], v12, v13, vcc
	v_subrev_co_u32_e64 v12, s[4:5], s30, v6
	v_subbrev_co_u32_e64 v10, s[4:5], 0, v10, s[4:5]
	v_cmp_le_u32_e64 s[4:5], s31, v10
	v_cndmask_b32_e64 v13, 0, -1, s[4:5]
	v_cmp_le_u32_e64 s[4:5], s30, v12
	v_cndmask_b32_e64 v12, 0, -1, s[4:5]
	v_cmp_eq_u32_e64 s[4:5], s31, v10
	v_cndmask_b32_e64 v10, v13, v12, s[4:5]
	v_add_co_u32_e64 v12, s[4:5], 2, v8
	v_subb_co_u32_e32 v7, vcc, v11, v7, vcc
	v_addc_co_u32_e64 v13, s[4:5], 0, v9, s[4:5]
	v_cmp_le_u32_e32 vcc, s31, v7
	v_add_co_u32_e64 v23, s[4:5], 1, v8
	v_cndmask_b32_e64 v11, 0, -1, vcc
	v_cmp_le_u32_e32 vcc, s30, v6
	v_addc_co_u32_e64 v24, s[4:5], 0, v9, s[4:5]
	v_cndmask_b32_e64 v6, 0, -1, vcc
	v_cmp_eq_u32_e32 vcc, s31, v7
	v_cmp_ne_u32_e64 s[4:5], 0, v10
	v_cndmask_b32_e32 v6, v11, v6, vcc
	v_cndmask_b32_e64 v10, v24, v13, s[4:5]
	v_cmp_ne_u32_e32 vcc, 0, v6
	v_cndmask_b32_e64 v7, v23, v12, s[4:5]
	v_cndmask_b32_e32 v6, v9, v10, vcc
	v_cndmask_b32_e32 v7, v8, v7, vcc
	v_xor_b32_e32 v8, s8, v6
	v_xor_b32_e32 v6, s8, v7
	v_mov_b32_e32 v7, s8
	v_subrev_co_u32_e32 v6, vcc, s8, v6
	v_subb_co_u32_e32 v7, vcc, v8, v7, vcc
.LBB3_21:                               ;   in Loop: Header=BB3_19 Depth=2
	s_or_saveexec_b64 s[4:5], s[6:7]
	v_cvt_f32_u32_e32 v13, s53
	s_xor_b64 exec, exec, s[4:5]
	s_cbranch_execz .LBB3_23
; %bb.22:                               ;   in Loop: Header=BB3_19 Depth=2
	v_rcp_iflag_f32_e32 v6, v13
	s_sub_i32 s6, 0, s53
	v_mul_f32_e32 v6, 0x4f7ffffe, v6
	v_cvt_u32_f32_e32 v6, v6
	v_mul_lo_u32 v7, s6, v6
	v_mul_hi_u32 v7, v6, v7
	v_add_u32_e32 v6, v6, v7
	v_mul_hi_u32 v6, v1, v6
	v_mul_lo_u32 v7, v6, s53
	v_add_u32_e32 v8, 1, v6
	v_sub_u32_e32 v7, v1, v7
	v_subrev_u32_e32 v9, s53, v7
	v_cmp_le_u32_e32 vcc, s53, v7
	v_cndmask_b32_e32 v7, v7, v9, vcc
	v_cndmask_b32_e32 v6, v6, v8, vcc
	v_add_u32_e32 v8, 1, v6
	v_cmp_le_u32_e32 vcc, s53, v7
	v_cndmask_b32_e32 v6, v6, v8, vcc
	v_mov_b32_e32 v7, v2
.LBB3_23:                               ;   in Loop: Header=BB3_19 Depth=2
	s_or_b64 exec, exec, s[4:5]
	v_mul_lo_u32 v9, v7, s53
	v_mul_lo_u32 v10, v6, s49
	v_mad_u64_u32 v[7:8], s[4:5], v6, s53, 0
	v_add3_u32 v8, v8, v10, v9
	v_sub_co_u32_e32 v7, vcc, v1, v7
	v_subb_co_u32_e32 v8, vcc, 0, v8, vcc
	v_mul_lo_u32 v8, v8, s54
	v_mul_lo_u32 v11, v7, s50
	v_mad_u64_u32 v[9:10], s[4:5], v7, s54, 0
	v_mov_b32_e32 v7, v2
	v_add3_u32 v10, v10, v11, v8
	v_or_b32_e32 v8, s49, v10
	v_cmp_ne_u64_e32 vcc, 0, v[7:8]
                                        ; implicit-def: $vgpr7_vgpr8
	s_and_saveexec_b64 s[4:5], vcc
	s_xor_b64 s[6:7], exec, s[4:5]
	s_cbranch_execz .LBB3_25
; %bb.24:                               ;   in Loop: Header=BB3_19 Depth=2
	s_ashr_i32 s8, s49, 31
	s_add_u32 s4, s53, s8
	s_mov_b32 s9, s8
	s_addc_u32 s5, s49, s8
	s_xor_b64 s[30:31], s[4:5], s[8:9]
	v_cvt_f32_u32_e32 v7, s30
	v_cvt_f32_u32_e32 v8, s31
	s_sub_u32 s9, 0, s30
	s_subb_u32 s23, 0, s31
	v_ashrrev_i32_e32 v11, 31, v10
	v_mac_f32_e32 v7, 0x4f800000, v8
	v_rcp_f32_e32 v7, v7
	v_mul_f32_e32 v7, 0x5f7ffffc, v7
	v_mul_f32_e32 v8, 0x2f800000, v7
	v_trunc_f32_e32 v8, v8
	v_mac_f32_e32 v7, 0xcf800000, v8
	v_cvt_u32_f32_e32 v8, v8
	v_cvt_u32_f32_e32 v7, v7
	v_readfirstlane_b32 s25, v8
	v_readfirstlane_b32 s4, v7
	s_mul_i32 s5, s9, s25
	s_mul_hi_u32 s35, s9, s4
	s_mul_i32 s34, s23, s4
	s_add_i32 s5, s35, s5
	s_add_i32 s5, s5, s34
	s_mul_i32 s36, s9, s4
	s_mul_i32 s35, s4, s5
	s_mul_hi_u32 s37, s4, s36
	s_mul_hi_u32 s34, s4, s5
	s_add_u32 s35, s37, s35
	s_addc_u32 s34, 0, s34
	s_mul_hi_u32 s38, s25, s36
	s_mul_i32 s36, s25, s36
	s_add_u32 s35, s35, s36
	s_mul_hi_u32 s37, s25, s5
	s_addc_u32 s34, s34, s38
	s_addc_u32 s35, s37, 0
	s_mul_i32 s5, s25, s5
	s_add_u32 s5, s34, s5
	s_addc_u32 s34, 0, s35
	s_add_u32 s35, s4, s5
	s_cselect_b64 s[4:5], -1, 0
	s_cmp_lg_u64 s[4:5], 0
	s_addc_u32 s25, s25, s34
	s_mul_i32 s4, s9, s25
	s_mul_hi_u32 s5, s9, s35
	s_add_i32 s4, s5, s4
	s_mul_i32 s23, s23, s35
	s_add_i32 s4, s4, s23
	s_mul_i32 s9, s9, s35
	s_mul_hi_u32 s23, s25, s9
	s_mul_i32 s34, s25, s9
	s_mul_i32 s37, s35, s4
	s_mul_hi_u32 s9, s35, s9
	s_mul_hi_u32 s36, s35, s4
	s_add_u32 s9, s9, s37
	s_addc_u32 s36, 0, s36
	s_add_u32 s9, s9, s34
	s_mul_hi_u32 s5, s25, s4
	s_addc_u32 s9, s36, s23
	s_addc_u32 s5, s5, 0
	s_mul_i32 s4, s25, s4
	s_add_u32 s4, s9, s4
	s_addc_u32 s9, 0, s5
	s_add_u32 s23, s35, s4
	s_cselect_b64 s[4:5], -1, 0
	s_cmp_lg_u64 s[4:5], 0
	v_add_co_u32_e32 v7, vcc, v9, v11
	s_addc_u32 s9, s25, s9
	v_xor_b32_e32 v12, v7, v11
	v_addc_co_u32_e32 v9, vcc, v10, v11, vcc
	v_mad_u64_u32 v[7:8], s[4:5], v12, s9, 0
	v_mul_hi_u32 v10, v12, s23
	v_xor_b32_e32 v23, v9, v11
	v_add_co_u32_e32 v24, vcc, v10, v7
	v_addc_co_u32_e32 v25, vcc, 0, v8, vcc
	v_mad_u64_u32 v[7:8], s[4:5], v23, s23, 0
	v_mad_u64_u32 v[9:10], s[4:5], v23, s9, 0
	v_add_co_u32_e32 v7, vcc, v24, v7
	v_addc_co_u32_e32 v7, vcc, v25, v8, vcc
	v_addc_co_u32_e32 v8, vcc, 0, v10, vcc
	v_add_co_u32_e32 v9, vcc, v7, v9
	v_addc_co_u32_e32 v10, vcc, 0, v8, vcc
	v_mul_lo_u32 v24, s31, v9
	v_mul_lo_u32 v25, s30, v10
	v_mad_u64_u32 v[7:8], s[4:5], s30, v9, 0
	v_add3_u32 v8, v8, v25, v24
	v_sub_u32_e32 v24, v23, v8
	v_mov_b32_e32 v25, s31
	v_sub_co_u32_e32 v7, vcc, v12, v7
	v_subb_co_u32_e64 v12, s[4:5], v24, v25, vcc
	v_subrev_co_u32_e64 v24, s[4:5], s30, v7
	v_subbrev_co_u32_e64 v12, s[4:5], 0, v12, s[4:5]
	v_cmp_le_u32_e64 s[4:5], s31, v12
	v_cndmask_b32_e64 v25, 0, -1, s[4:5]
	v_cmp_le_u32_e64 s[4:5], s30, v24
	v_cndmask_b32_e64 v24, 0, -1, s[4:5]
	v_cmp_eq_u32_e64 s[4:5], s31, v12
	v_cndmask_b32_e64 v12, v25, v24, s[4:5]
	v_add_co_u32_e64 v24, s[4:5], 2, v9
	v_subb_co_u32_e32 v8, vcc, v23, v8, vcc
	v_addc_co_u32_e64 v25, s[4:5], 0, v10, s[4:5]
	v_cmp_le_u32_e32 vcc, s31, v8
	v_add_co_u32_e64 v26, s[4:5], 1, v9
	v_cndmask_b32_e64 v23, 0, -1, vcc
	v_cmp_le_u32_e32 vcc, s30, v7
	v_addc_co_u32_e64 v27, s[4:5], 0, v10, s[4:5]
	v_cndmask_b32_e64 v7, 0, -1, vcc
	v_cmp_eq_u32_e32 vcc, s31, v8
	v_cmp_ne_u32_e64 s[4:5], 0, v12
	v_cndmask_b32_e32 v7, v23, v7, vcc
	v_cndmask_b32_e64 v12, v27, v25, s[4:5]
	v_cmp_ne_u32_e32 vcc, 0, v7
	v_cndmask_b32_e64 v8, v26, v24, s[4:5]
	v_cndmask_b32_e32 v7, v10, v12, vcc
	v_cndmask_b32_e32 v8, v9, v8, vcc
	v_xor_b32_e32 v9, s8, v11
	v_xor_b32_e32 v10, v7, v9
	v_xor_b32_e32 v7, v8, v9
	v_sub_co_u32_e32 v7, vcc, v7, v9
	v_subb_co_u32_e32 v8, vcc, v10, v9, vcc
                                        ; implicit-def: $vgpr9_vgpr10
.LBB3_25:                               ;   in Loop: Header=BB3_19 Depth=2
	s_andn2_saveexec_b64 s[4:5], s[6:7]
	s_cbranch_execz .LBB3_27
; %bb.26:                               ;   in Loop: Header=BB3_19 Depth=2
	v_rcp_iflag_f32_e32 v7, v13
	s_sub_i32 s6, 0, s53
	v_mul_f32_e32 v7, 0x4f7ffffe, v7
	v_cvt_u32_f32_e32 v7, v7
	v_mul_lo_u32 v8, s6, v7
	v_mul_hi_u32 v8, v7, v8
	v_add_u32_e32 v7, v7, v8
	v_mul_hi_u32 v7, v9, v7
	v_mul_lo_u32 v8, v7, s53
	v_add_u32_e32 v10, 1, v7
	v_sub_u32_e32 v8, v9, v8
	v_subrev_u32_e32 v9, s53, v8
	v_cmp_le_u32_e32 vcc, s53, v8
	v_cndmask_b32_e32 v8, v8, v9, vcc
	v_cndmask_b32_e32 v7, v7, v10, vcc
	v_add_u32_e32 v9, 1, v7
	v_cmp_le_u32_e32 vcc, s53, v8
	v_cndmask_b32_e32 v7, v7, v9, vcc
	v_mov_b32_e32 v8, v2
.LBB3_27:                               ;   in Loop: Header=BB3_19 Depth=2
	s_or_b64 exec, exec, s[4:5]
	v_add_u32_e32 v11, 1, v1
	v_mad_u64_u32 v[9:10], s[4:5], v11, s54, -1
	v_mad_u64_u32 v[10:11], s[4:5], v11, s50, v[10:11]
	v_mov_b32_e32 v11, v2
	v_or_b32_e32 v12, s49, v10
	v_cmp_ne_u64_e32 vcc, 0, v[11:12]
                                        ; implicit-def: $vgpr11_vgpr12
	s_and_saveexec_b64 s[4:5], vcc
	s_xor_b64 s[6:7], exec, s[4:5]
	s_cbranch_execz .LBB3_29
; %bb.28:                               ;   in Loop: Header=BB3_19 Depth=2
	s_ashr_i32 s8, s49, 31
	s_add_u32 s4, s53, s8
	s_mov_b32 s9, s8
	s_addc_u32 s5, s49, s8
	s_xor_b64 s[30:31], s[4:5], s[8:9]
	v_cvt_f32_u32_e32 v11, s30
	v_cvt_f32_u32_e32 v12, s31
	s_sub_u32 s9, 0, s30
	s_subb_u32 s23, 0, s31
	v_ashrrev_i32_e32 v13, 31, v10
	v_mac_f32_e32 v11, 0x4f800000, v12
	v_rcp_f32_e32 v11, v11
	v_add_co_u32_e32 v9, vcc, v9, v13
	v_xor_b32_e32 v23, v9, v13
	v_mul_f32_e32 v11, 0x5f7ffffc, v11
	v_mul_f32_e32 v12, 0x2f800000, v11
	v_trunc_f32_e32 v12, v12
	v_mac_f32_e32 v11, 0xcf800000, v12
	v_cvt_u32_f32_e32 v12, v12
	v_cvt_u32_f32_e32 v11, v11
	v_readfirstlane_b32 s25, v12
	v_readfirstlane_b32 s4, v11
	s_mul_i32 s5, s9, s25
	s_mul_hi_u32 s35, s9, s4
	s_mul_i32 s34, s23, s4
	s_add_i32 s5, s35, s5
	s_add_i32 s5, s5, s34
	s_mul_i32 s36, s9, s4
	s_mul_i32 s35, s4, s5
	s_mul_hi_u32 s37, s4, s36
	s_mul_hi_u32 s34, s4, s5
	s_add_u32 s35, s37, s35
	s_addc_u32 s34, 0, s34
	s_mul_hi_u32 s38, s25, s36
	s_mul_i32 s36, s25, s36
	s_add_u32 s35, s35, s36
	s_mul_hi_u32 s37, s25, s5
	s_addc_u32 s34, s34, s38
	s_addc_u32 s35, s37, 0
	s_mul_i32 s5, s25, s5
	s_add_u32 s5, s34, s5
	s_addc_u32 s34, 0, s35
	s_add_u32 s35, s4, s5
	s_cselect_b64 s[4:5], -1, 0
	s_cmp_lg_u64 s[4:5], 0
	s_addc_u32 s25, s25, s34
	s_mul_i32 s4, s9, s25
	s_mul_hi_u32 s5, s9, s35
	s_add_i32 s4, s5, s4
	s_mul_i32 s23, s23, s35
	s_add_i32 s4, s4, s23
	s_mul_i32 s9, s9, s35
	s_mul_hi_u32 s23, s25, s9
	s_mul_i32 s34, s25, s9
	s_mul_i32 s37, s35, s4
	s_mul_hi_u32 s9, s35, s9
	s_mul_hi_u32 s36, s35, s4
	s_add_u32 s9, s9, s37
	s_addc_u32 s36, 0, s36
	s_add_u32 s9, s9, s34
	s_mul_hi_u32 s5, s25, s4
	s_addc_u32 s9, s36, s23
	s_addc_u32 s5, s5, 0
	s_mul_i32 s4, s25, s4
	s_add_u32 s4, s9, s4
	s_addc_u32 s9, 0, s5
	s_add_u32 s23, s35, s4
	s_cselect_b64 s[4:5], -1, 0
	s_cmp_lg_u64 s[4:5], 0
	s_addc_u32 s9, s25, s9
	v_addc_co_u32_e32 v11, vcc, v10, v13, vcc
	v_mad_u64_u32 v[9:10], s[4:5], v23, s9, 0
	v_mul_hi_u32 v12, v23, s23
	v_xor_b32_e32 v24, v11, v13
	v_add_co_u32_e32 v25, vcc, v12, v9
	v_addc_co_u32_e32 v26, vcc, 0, v10, vcc
	v_mad_u64_u32 v[9:10], s[4:5], v24, s23, 0
	v_mad_u64_u32 v[11:12], s[4:5], v24, s9, 0
	v_add_co_u32_e32 v9, vcc, v25, v9
	v_addc_co_u32_e32 v9, vcc, v26, v10, vcc
	v_addc_co_u32_e32 v10, vcc, 0, v12, vcc
	v_add_co_u32_e32 v11, vcc, v9, v11
	v_addc_co_u32_e32 v9, vcc, 0, v10, vcc
	v_mul_lo_u32 v12, s31, v11
	v_mul_lo_u32 v25, s30, v9
	v_mad_u64_u32 v[9:10], s[4:5], s30, v11, 0
	v_add3_u32 v10, v10, v25, v12
	v_sub_u32_e32 v12, v24, v10
	v_mov_b32_e32 v25, s31
	v_sub_co_u32_e32 v9, vcc, v23, v9
	v_subb_co_u32_e64 v12, s[4:5], v12, v25, vcc
	v_subrev_co_u32_e64 v23, s[4:5], s30, v9
	v_subbrev_co_u32_e64 v12, s[4:5], 0, v12, s[4:5]
	v_cmp_le_u32_e64 s[4:5], s31, v12
	v_subb_co_u32_e32 v10, vcc, v24, v10, vcc
	v_cndmask_b32_e64 v25, 0, -1, s[4:5]
	v_cmp_le_u32_e64 s[4:5], s30, v23
	v_cmp_le_u32_e32 vcc, s31, v10
	v_cndmask_b32_e64 v23, 0, -1, s[4:5]
	v_cmp_eq_u32_e64 s[4:5], s31, v12
	v_cndmask_b32_e64 v24, 0, -1, vcc
	v_cmp_le_u32_e32 vcc, s30, v9
	v_cndmask_b32_e64 v12, v25, v23, s[4:5]
	v_cndmask_b32_e64 v9, 0, -1, vcc
	v_cmp_eq_u32_e32 vcc, s31, v10
	v_add_co_u32_e64 v23, s[4:5], 2, v11
	v_add_co_u32_e64 v25, s[4:5], 1, v11
	v_cndmask_b32_e32 v9, v24, v9, vcc
	v_cmp_ne_u32_e32 vcc, 0, v12
	v_cndmask_b32_e32 v10, v25, v23, vcc
	v_cmp_ne_u32_e32 vcc, 0, v9
	v_cndmask_b32_e32 v9, v11, v10, vcc
	v_xor_b32_e32 v10, s8, v13
	v_xor_b32_e32 v9, v9, v10
	v_sub_co_u32_e32 v11, vcc, v9, v10
                                        ; implicit-def: $vgpr13
                                        ; implicit-def: $vgpr9_vgpr10
.LBB3_29:                               ;   in Loop: Header=BB3_19 Depth=2
	s_andn2_saveexec_b64 s[4:5], s[6:7]
	s_cbranch_execz .LBB3_31
; %bb.30:                               ;   in Loop: Header=BB3_19 Depth=2
	v_rcp_iflag_f32_e32 v10, v13
	s_sub_i32 s6, 0, s53
	v_mul_f32_e32 v10, 0x4f7ffffe, v10
	v_cvt_u32_f32_e32 v10, v10
	v_mul_lo_u32 v11, s6, v10
	v_mul_hi_u32 v11, v10, v11
	v_add_u32_e32 v10, v10, v11
	v_mul_hi_u32 v10, v9, v10
	v_mul_lo_u32 v11, v10, s53
	v_add_u32_e32 v12, 1, v10
	v_sub_u32_e32 v9, v9, v11
	v_subrev_u32_e32 v11, s53, v9
	v_cmp_le_u32_e32 vcc, s53, v9
	v_cndmask_b32_e32 v9, v9, v11, vcc
	v_cndmask_b32_e32 v10, v10, v12, vcc
	v_add_u32_e32 v11, 1, v10
	v_cmp_le_u32_e32 vcc, s53, v9
	v_cndmask_b32_e32 v11, v10, v11, vcc
.LBB3_31:                               ;   in Loop: Header=BB3_19 Depth=2
	s_or_b64 exec, exec, s[4:5]
	v_mad_u64_u32 v[12:13], s[4:5], v6, s54, v[7:8]
	v_mov_b32_e32 v13, 0xffffff80
	v_add_u32_e32 v8, v22, v12
	s_and_saveexec_b64 s[30:31], s[2:3]
	s_cbranch_execz .LBB3_18
; %bb.32:                               ;   in Loop: Header=BB3_19 Depth=2
	v_sub_u32_e32 v9, v11, v12
	v_ashrrev_i32_e32 v11, 31, v12
	v_add_u32_e32 v23, 1, v9
	v_mad_u64_u32 v[9:10], s[4:5], s18, v12, v[3:4]
	v_mul_lo_u32 v12, s19, v12
	v_mul_lo_u32 v11, s18, v11
	v_add_u32_e32 v6, v5, v6
	v_mad_u64_u32 v[6:7], s[4:5], s13, v6, v[7:8]
	s_mov_b32 s23, 0
	v_cmp_lt_i32_e32 vcc, 0, v23
	v_add3_u32 v10, v12, v10, v11
	v_mov_b32_e32 v13, 0xffffff80
	s_mov_b64 s[34:35], 0
	s_branch .LBB3_34
.LBB3_33:                               ;   in Loop: Header=BB3_34 Depth=3
	s_or_b64 exec, exec, s[36:37]
	v_mov_b32_e32 v7, s17
	v_add_co_u32_e64 v9, s[4:5], s16, v9
	s_add_i32 s23, s23, 1
	v_addc_co_u32_e64 v10, s[4:5], v10, v7, s[4:5]
	v_cmp_ge_i32_e64 s[4:5], s23, v17
	s_or_b64 s[34:35], s[4:5], s[34:35]
	v_add_u32_e32 v6, s13, v6
	s_andn2_b64 exec, exec, s[34:35]
	s_cbranch_execz .LBB3_17
.LBB3_34:                               ;   Parent Loop BB3_3 Depth=1
                                        ;     Parent Loop BB3_19 Depth=2
                                        ; =>    This Loop Header: Depth=3
                                        ;         Child Loop BB3_36 Depth 4
	s_and_saveexec_b64 s[36:37], vcc
	s_cbranch_execz .LBB3_33
; %bb.35:                               ;   in Loop: Header=BB3_34 Depth=3
	v_mov_b32_e32 v12, v10
	s_mov_b32 s25, 0
	s_mov_b64 s[38:39], 0
	v_mov_b32_e32 v11, v9
.LBB3_36:                               ;   Parent Loop BB3_3 Depth=1
                                        ;     Parent Loop BB3_19 Depth=2
                                        ;       Parent Loop BB3_34 Depth=3
                                        ; =>      This Inner Loop Header: Depth=4
	global_load_ushort v7, v[11:12], off
	v_mov_b32_e32 v26, s19
	v_add_co_u32_e64 v11, s[4:5], s18, v11
	v_lshlrev_b32_e32 v24, 16, v13
	v_addc_co_u32_e64 v12, s[4:5], v12, v26, s[4:5]
	v_add_u32_e32 v25, s25, v6
	s_add_i32 s25, s25, 1
	v_cmp_ge_i32_e64 s[4:5], s25, v23
	s_waitcnt vmcnt(0)
	v_lshlrev_b32_e32 v26, 16, v7
	v_cmp_gt_f32_e64 s[6:7], v26, v24
	v_cmp_u_f32_e64 s[8:9], v26, v26
	s_or_b64 s[6:7], s[6:7], s[8:9]
	v_cndmask_b32_e64 v13, v13, v7, s[6:7]
	s_or_b64 s[38:39], s[4:5], s[38:39]
	v_cndmask_b32_e64 v8, v8, v25, s[6:7]
	s_andn2_b64 exec, exec, s[38:39]
	s_cbranch_execnz .LBB3_36
; %bb.37:                               ;   in Loop: Header=BB3_34 Depth=3
	s_or_b64 exec, exec, s[38:39]
	s_branch .LBB3_33
.LBB3_38:
	s_endpgm
	.section	.rodata,"a",@progbits
	.p2align	6, 0x0
	.amdhsa_kernel _ZN2at6native12_GLOBAL__N_115adaptivemaxpoolIN3c108BFloat16EEEvPKT_PS5_Pliiiilll
		.amdhsa_group_segment_fixed_size 0
		.amdhsa_private_segment_fixed_size 0
		.amdhsa_kernarg_size 320
		.amdhsa_user_sgpr_count 6
		.amdhsa_user_sgpr_private_segment_buffer 1
		.amdhsa_user_sgpr_dispatch_ptr 0
		.amdhsa_user_sgpr_queue_ptr 0
		.amdhsa_user_sgpr_kernarg_segment_ptr 1
		.amdhsa_user_sgpr_dispatch_id 0
		.amdhsa_user_sgpr_flat_scratch_init 0
		.amdhsa_user_sgpr_private_segment_size 0
		.amdhsa_uses_dynamic_stack 0
		.amdhsa_system_sgpr_private_segment_wavefront_offset 0
		.amdhsa_system_sgpr_workgroup_id_x 1
		.amdhsa_system_sgpr_workgroup_id_y 1
		.amdhsa_system_sgpr_workgroup_id_z 0
		.amdhsa_system_sgpr_workgroup_info 0
		.amdhsa_system_vgpr_workitem_id 1
		.amdhsa_next_free_vgpr 28
		.amdhsa_next_free_sgpr 55
		.amdhsa_reserve_vcc 1
		.amdhsa_reserve_flat_scratch 0
		.amdhsa_float_round_mode_32 0
		.amdhsa_float_round_mode_16_64 0
		.amdhsa_float_denorm_mode_32 3
		.amdhsa_float_denorm_mode_16_64 3
		.amdhsa_dx10_clamp 1
		.amdhsa_ieee_mode 1
		.amdhsa_fp16_overflow 0
		.amdhsa_exception_fp_ieee_invalid_op 0
		.amdhsa_exception_fp_denorm_src 0
		.amdhsa_exception_fp_ieee_div_zero 0
		.amdhsa_exception_fp_ieee_overflow 0
		.amdhsa_exception_fp_ieee_underflow 0
		.amdhsa_exception_fp_ieee_inexact 0
		.amdhsa_exception_int_div_zero 0
	.end_amdhsa_kernel
	.section	.text._ZN2at6native12_GLOBAL__N_115adaptivemaxpoolIN3c108BFloat16EEEvPKT_PS5_Pliiiilll,"axG",@progbits,_ZN2at6native12_GLOBAL__N_115adaptivemaxpoolIN3c108BFloat16EEEvPKT_PS5_Pliiiilll,comdat
.Lfunc_end3:
	.size	_ZN2at6native12_GLOBAL__N_115adaptivemaxpoolIN3c108BFloat16EEEvPKT_PS5_Pliiiilll, .Lfunc_end3-_ZN2at6native12_GLOBAL__N_115adaptivemaxpoolIN3c108BFloat16EEEvPKT_PS5_Pliiiilll
                                        ; -- End function
	.set _ZN2at6native12_GLOBAL__N_115adaptivemaxpoolIN3c108BFloat16EEEvPKT_PS5_Pliiiilll.num_vgpr, 28
	.set _ZN2at6native12_GLOBAL__N_115adaptivemaxpoolIN3c108BFloat16EEEvPKT_PS5_Pliiiilll.num_agpr, 0
	.set _ZN2at6native12_GLOBAL__N_115adaptivemaxpoolIN3c108BFloat16EEEvPKT_PS5_Pliiiilll.numbered_sgpr, 55
	.set _ZN2at6native12_GLOBAL__N_115adaptivemaxpoolIN3c108BFloat16EEEvPKT_PS5_Pliiiilll.num_named_barrier, 0
	.set _ZN2at6native12_GLOBAL__N_115adaptivemaxpoolIN3c108BFloat16EEEvPKT_PS5_Pliiiilll.private_seg_size, 0
	.set _ZN2at6native12_GLOBAL__N_115adaptivemaxpoolIN3c108BFloat16EEEvPKT_PS5_Pliiiilll.uses_vcc, 1
	.set _ZN2at6native12_GLOBAL__N_115adaptivemaxpoolIN3c108BFloat16EEEvPKT_PS5_Pliiiilll.uses_flat_scratch, 0
	.set _ZN2at6native12_GLOBAL__N_115adaptivemaxpoolIN3c108BFloat16EEEvPKT_PS5_Pliiiilll.has_dyn_sized_stack, 0
	.set _ZN2at6native12_GLOBAL__N_115adaptivemaxpoolIN3c108BFloat16EEEvPKT_PS5_Pliiiilll.has_recursion, 0
	.set _ZN2at6native12_GLOBAL__N_115adaptivemaxpoolIN3c108BFloat16EEEvPKT_PS5_Pliiiilll.has_indirect_call, 0
	.section	.AMDGPU.csdata,"",@progbits
; Kernel info:
; codeLenInByte = 4820
; TotalNumSgprs: 59
; NumVgprs: 28
; ScratchSize: 0
; MemoryBound: 0
; FloatMode: 240
; IeeeMode: 1
; LDSByteSize: 0 bytes/workgroup (compile time only)
; SGPRBlocks: 7
; VGPRBlocks: 6
; NumSGPRsForWavesPerEU: 59
; NumVGPRsForWavesPerEU: 28
; Occupancy: 9
; WaveLimiterHint : 0
; COMPUTE_PGM_RSRC2:SCRATCH_EN: 0
; COMPUTE_PGM_RSRC2:USER_SGPR: 6
; COMPUTE_PGM_RSRC2:TRAP_HANDLER: 0
; COMPUTE_PGM_RSRC2:TGID_X_EN: 1
; COMPUTE_PGM_RSRC2:TGID_Y_EN: 1
; COMPUTE_PGM_RSRC2:TGID_Z_EN: 0
; COMPUTE_PGM_RSRC2:TIDIG_COMP_CNT: 1
	.section	.text._ZN2at6native12_GLOBAL__N_126atomicadaptivemaxgradinputIdEEvPT_PKS3_PKliiii,"axG",@progbits,_ZN2at6native12_GLOBAL__N_126atomicadaptivemaxgradinputIdEEvPT_PKS3_PKliiii,comdat
	.globl	_ZN2at6native12_GLOBAL__N_126atomicadaptivemaxgradinputIdEEvPT_PKS3_PKliiii ; -- Begin function _ZN2at6native12_GLOBAL__N_126atomicadaptivemaxgradinputIdEEvPT_PKS3_PKliiii
	.p2align	8
	.type	_ZN2at6native12_GLOBAL__N_126atomicadaptivemaxgradinputIdEEvPT_PKS3_PKliiii,@function
_ZN2at6native12_GLOBAL__N_126atomicadaptivemaxgradinputIdEEvPT_PKS3_PKliiii: ; @_ZN2at6native12_GLOBAL__N_126atomicadaptivemaxgradinputIdEEvPT_PKS3_PKliiii
; %bb.0:
	s_load_dword s10, s[4:5], 0x34
	s_load_dwordx4 s[0:3], s[4:5], 0x18
	s_add_u32 s8, s4, 40
	s_addc_u32 s9, s5, 0
	s_waitcnt lgkmcnt(0)
	s_lshr_b32 s11, s10, 16
	s_mul_i32 s7, s7, s11
	v_add_u32_e32 v11, s7, v1
	v_cmp_gt_i32_e32 vcc, s2, v11
	s_and_saveexec_b64 s[12:13], vcc
	s_cbranch_execz .LBB4_8
; %bb.1:
	s_load_dword s13, s[8:9], 0x4
	s_load_dwordx4 s[16:19], s[4:5], 0x0
	s_load_dwordx2 s[20:21], s[4:5], 0x10
	s_mul_i32 s4, s2, s6
	s_mul_i32 s4, s4, s3
	s_ashr_i32 s5, s4, 31
	s_and_b32 s12, s10, 0xffff
	s_lshl_b64 s[4:5], s[4:5], 3
	s_mul_i32 s0, s0, s6
	s_waitcnt lgkmcnt(0)
	s_add_u32 s14, s18, s4
	s_mul_i32 s0, s0, s1
	s_addc_u32 s15, s19, s5
	s_ashr_i32 s1, s0, 31
	s_lshl_b64 s[0:1], s[0:1], 3
	s_add_u32 s16, s16, s0
	s_addc_u32 s0, s17, s1
	s_add_u32 s17, s20, s4
	s_mul_i32 s13, s13, s11
	s_addc_u32 s18, s21, s5
	v_cmp_gt_i32_e32 vcc, s3, v0
	s_mov_b64 s[4:5], 0
	v_mov_b32_e32 v6, 0
	v_mov_b32_e32 v12, s0
	s_branch .LBB4_3
.LBB4_2:                                ;   in Loop: Header=BB4_3 Depth=1
	s_or_b64 exec, exec, s[6:7]
	v_add_u32_e32 v11, s13, v11
	v_cmp_le_i32_e64 s[0:1], s2, v11
	s_or_b64 s[4:5], s[0:1], s[4:5]
	s_andn2_b64 exec, exec, s[4:5]
	s_cbranch_execz .LBB4_8
.LBB4_3:                                ; =>This Loop Header: Depth=1
                                        ;     Child Loop BB4_5 Depth 2
                                        ;       Child Loop BB4_6 Depth 3
	s_and_saveexec_b64 s[6:7], vcc
	s_cbranch_execz .LBB4_2
; %bb.4:                                ;   in Loop: Header=BB4_3 Depth=1
	v_mul_lo_u32 v1, v11, s3
	v_mov_b32_e32 v3, s15
	s_mov_b64 s[8:9], 0
	v_mov_b32_e32 v5, v0
	v_ashrrev_i32_e32 v2, 31, v1
	v_lshlrev_b64 v[1:2], 3, v[1:2]
	v_add_co_u32_e64 v13, s[0:1], s14, v1
	v_addc_co_u32_e64 v14, s[0:1], v3, v2, s[0:1]
	v_mov_b32_e32 v3, s18
	v_add_co_u32_e64 v15, s[0:1], s17, v1
	v_addc_co_u32_e64 v16, s[0:1], v3, v2, s[0:1]
.LBB4_5:                                ;   Parent Loop BB4_3 Depth=1
                                        ; =>  This Loop Header: Depth=2
                                        ;       Child Loop BB4_6 Depth 3
	v_lshlrev_b64 v[1:2], 3, v[5:6]
	s_mov_b64 s[10:11], 0
	v_add_co_u32_e64 v3, s[0:1], v15, v1
	v_addc_co_u32_e64 v4, s[0:1], v16, v2, s[0:1]
	global_load_dword v4, v[3:4], off
	v_add_co_u32_e64 v1, s[0:1], v13, v1
	v_mov_b32_e32 v3, v6
	v_addc_co_u32_e64 v2, s[0:1], v14, v2, s[0:1]
	global_load_dwordx2 v[7:8], v[1:2], off
	s_waitcnt vmcnt(1)
	v_ashrrev_i64 v[1:2], 29, v[3:4]
	v_add_co_u32_e64 v9, s[0:1], s16, v1
	v_addc_co_u32_e64 v10, s[0:1], v12, v2, s[0:1]
	global_load_dwordx2 v[3:4], v[9:10], off
.LBB4_6:                                ;   Parent Loop BB4_3 Depth=1
                                        ;     Parent Loop BB4_5 Depth=2
                                        ; =>    This Inner Loop Header: Depth=3
	s_waitcnt vmcnt(0)
	v_add_f64 v[1:2], v[3:4], v[7:8]
	global_atomic_cmpswap_x2 v[1:2], v[9:10], v[1:4], off glc
	s_waitcnt vmcnt(0)
	v_cmp_eq_u64_e64 s[0:1], v[1:2], v[3:4]
	v_mov_b32_e32 v4, v2
	s_or_b64 s[10:11], s[0:1], s[10:11]
	v_mov_b32_e32 v3, v1
	s_andn2_b64 exec, exec, s[10:11]
	s_cbranch_execnz .LBB4_6
; %bb.7:                                ;   in Loop: Header=BB4_5 Depth=2
	s_or_b64 exec, exec, s[10:11]
	v_add_u32_e32 v5, s12, v5
	v_cmp_le_i32_e64 s[0:1], s3, v5
	s_or_b64 s[8:9], s[0:1], s[8:9]
	s_andn2_b64 exec, exec, s[8:9]
	s_cbranch_execnz .LBB4_5
	s_branch .LBB4_2
.LBB4_8:
	s_endpgm
	.section	.rodata,"a",@progbits
	.p2align	6, 0x0
	.amdhsa_kernel _ZN2at6native12_GLOBAL__N_126atomicadaptivemaxgradinputIdEEvPT_PKS3_PKliiii
		.amdhsa_group_segment_fixed_size 0
		.amdhsa_private_segment_fixed_size 0
		.amdhsa_kernarg_size 296
		.amdhsa_user_sgpr_count 6
		.amdhsa_user_sgpr_private_segment_buffer 1
		.amdhsa_user_sgpr_dispatch_ptr 0
		.amdhsa_user_sgpr_queue_ptr 0
		.amdhsa_user_sgpr_kernarg_segment_ptr 1
		.amdhsa_user_sgpr_dispatch_id 0
		.amdhsa_user_sgpr_flat_scratch_init 0
		.amdhsa_user_sgpr_private_segment_size 0
		.amdhsa_uses_dynamic_stack 0
		.amdhsa_system_sgpr_private_segment_wavefront_offset 0
		.amdhsa_system_sgpr_workgroup_id_x 1
		.amdhsa_system_sgpr_workgroup_id_y 1
		.amdhsa_system_sgpr_workgroup_id_z 0
		.amdhsa_system_sgpr_workgroup_info 0
		.amdhsa_system_vgpr_workitem_id 1
		.amdhsa_next_free_vgpr 17
		.amdhsa_next_free_sgpr 22
		.amdhsa_reserve_vcc 1
		.amdhsa_reserve_flat_scratch 0
		.amdhsa_float_round_mode_32 0
		.amdhsa_float_round_mode_16_64 0
		.amdhsa_float_denorm_mode_32 3
		.amdhsa_float_denorm_mode_16_64 3
		.amdhsa_dx10_clamp 1
		.amdhsa_ieee_mode 1
		.amdhsa_fp16_overflow 0
		.amdhsa_exception_fp_ieee_invalid_op 0
		.amdhsa_exception_fp_denorm_src 0
		.amdhsa_exception_fp_ieee_div_zero 0
		.amdhsa_exception_fp_ieee_overflow 0
		.amdhsa_exception_fp_ieee_underflow 0
		.amdhsa_exception_fp_ieee_inexact 0
		.amdhsa_exception_int_div_zero 0
	.end_amdhsa_kernel
	.section	.text._ZN2at6native12_GLOBAL__N_126atomicadaptivemaxgradinputIdEEvPT_PKS3_PKliiii,"axG",@progbits,_ZN2at6native12_GLOBAL__N_126atomicadaptivemaxgradinputIdEEvPT_PKS3_PKliiii,comdat
.Lfunc_end4:
	.size	_ZN2at6native12_GLOBAL__N_126atomicadaptivemaxgradinputIdEEvPT_PKS3_PKliiii, .Lfunc_end4-_ZN2at6native12_GLOBAL__N_126atomicadaptivemaxgradinputIdEEvPT_PKS3_PKliiii
                                        ; -- End function
	.set _ZN2at6native12_GLOBAL__N_126atomicadaptivemaxgradinputIdEEvPT_PKS3_PKliiii.num_vgpr, 17
	.set _ZN2at6native12_GLOBAL__N_126atomicadaptivemaxgradinputIdEEvPT_PKS3_PKliiii.num_agpr, 0
	.set _ZN2at6native12_GLOBAL__N_126atomicadaptivemaxgradinputIdEEvPT_PKS3_PKliiii.numbered_sgpr, 22
	.set _ZN2at6native12_GLOBAL__N_126atomicadaptivemaxgradinputIdEEvPT_PKS3_PKliiii.num_named_barrier, 0
	.set _ZN2at6native12_GLOBAL__N_126atomicadaptivemaxgradinputIdEEvPT_PKS3_PKliiii.private_seg_size, 0
	.set _ZN2at6native12_GLOBAL__N_126atomicadaptivemaxgradinputIdEEvPT_PKS3_PKliiii.uses_vcc, 1
	.set _ZN2at6native12_GLOBAL__N_126atomicadaptivemaxgradinputIdEEvPT_PKS3_PKliiii.uses_flat_scratch, 0
	.set _ZN2at6native12_GLOBAL__N_126atomicadaptivemaxgradinputIdEEvPT_PKS3_PKliiii.has_dyn_sized_stack, 0
	.set _ZN2at6native12_GLOBAL__N_126atomicadaptivemaxgradinputIdEEvPT_PKS3_PKliiii.has_recursion, 0
	.set _ZN2at6native12_GLOBAL__N_126atomicadaptivemaxgradinputIdEEvPT_PKS3_PKliiii.has_indirect_call, 0
	.section	.AMDGPU.csdata,"",@progbits
; Kernel info:
; codeLenInByte = 460
; TotalNumSgprs: 26
; NumVgprs: 17
; ScratchSize: 0
; MemoryBound: 0
; FloatMode: 240
; IeeeMode: 1
; LDSByteSize: 0 bytes/workgroup (compile time only)
; SGPRBlocks: 3
; VGPRBlocks: 4
; NumSGPRsForWavesPerEU: 26
; NumVGPRsForWavesPerEU: 17
; Occupancy: 10
; WaveLimiterHint : 1
; COMPUTE_PGM_RSRC2:SCRATCH_EN: 0
; COMPUTE_PGM_RSRC2:USER_SGPR: 6
; COMPUTE_PGM_RSRC2:TRAP_HANDLER: 0
; COMPUTE_PGM_RSRC2:TGID_X_EN: 1
; COMPUTE_PGM_RSRC2:TGID_Y_EN: 1
; COMPUTE_PGM_RSRC2:TGID_Z_EN: 0
; COMPUTE_PGM_RSRC2:TIDIG_COMP_CNT: 1
	.section	.text._ZN2at6native12_GLOBAL__N_120adaptivemaxgradinputIdEEvPT_PKS3_PKliiii,"axG",@progbits,_ZN2at6native12_GLOBAL__N_120adaptivemaxgradinputIdEEvPT_PKS3_PKliiii,comdat
	.globl	_ZN2at6native12_GLOBAL__N_120adaptivemaxgradinputIdEEvPT_PKS3_PKliiii ; -- Begin function _ZN2at6native12_GLOBAL__N_120adaptivemaxgradinputIdEEvPT_PKS3_PKliiii
	.p2align	8
	.type	_ZN2at6native12_GLOBAL__N_120adaptivemaxgradinputIdEEvPT_PKS3_PKliiii,@function
_ZN2at6native12_GLOBAL__N_120adaptivemaxgradinputIdEEvPT_PKS3_PKliiii: ; @_ZN2at6native12_GLOBAL__N_120adaptivemaxgradinputIdEEvPT_PKS3_PKliiii
; %bb.0:
	s_load_dword s16, s[4:5], 0x34
	s_load_dwordx4 s[0:3], s[4:5], 0x18
	s_add_u32 s14, s4, 40
	s_addc_u32 s15, s5, 0
	s_waitcnt lgkmcnt(0)
	s_lshr_b32 s17, s16, 16
	s_mul_i32 s7, s7, s17
	v_add_u32_e32 v5, s7, v1
	v_cmp_gt_i32_e32 vcc, s2, v5
	s_and_saveexec_b64 s[8:9], vcc
	s_cbranch_execz .LBB5_6
; %bb.1:
	s_load_dword s7, s[14:15], 0x4
	s_load_dwordx4 s[8:11], s[4:5], 0x0
	s_load_dwordx2 s[12:13], s[4:5], 0x10
	s_mul_i32 s0, s0, s6
	s_mul_i32 s4, s2, s6
	;; [unrolled: 1-line block ×4, first 2 shown]
	s_ashr_i32 s1, s0, 31
	s_and_b32 s14, s16, 0xffff
	s_ashr_i32 s5, s4, 31
	s_lshl_b64 s[0:1], s[0:1], 3
	s_waitcnt lgkmcnt(0)
	s_add_u32 s16, s8, s0
	s_mul_i32 s15, s7, s17
	s_addc_u32 s17, s9, s1
	s_lshl_b64 s[0:1], s[4:5], 3
	v_lshlrev_b32_e32 v2, 3, v0
	v_mov_b32_e32 v3, s1
	v_add_co_u32_e64 v6, s[0:1], s0, v2
	v_addc_co_u32_e64 v7, s[0:1], 0, v3, s[0:1]
	v_mul_lo_u32 v3, s3, v5
	v_cmp_gt_i32_e32 vcc, s3, v0
	v_mov_b32_e32 v1, 0
	s_mul_i32 s18, s15, s3
	s_lshl_b32 s19, s14, 3
	s_mov_b64 s[4:5], 0
	s_branch .LBB5_3
.LBB5_2:                                ;   in Loop: Header=BB5_3 Depth=1
	s_or_b64 exec, exec, s[6:7]
	v_add_u32_e32 v5, s15, v5
	v_cmp_le_i32_e64 s[0:1], s2, v5
	s_or_b64 s[4:5], s[0:1], s[4:5]
	v_add_u32_e32 v3, s18, v3
	s_andn2_b64 exec, exec, s[4:5]
	s_cbranch_execz .LBB5_6
.LBB5_3:                                ; =>This Loop Header: Depth=1
                                        ;     Child Loop BB5_5 Depth 2
	s_and_saveexec_b64 s[6:7], vcc
	s_cbranch_execz .LBB5_2
; %bb.4:                                ;   in Loop: Header=BB5_3 Depth=1
	v_ashrrev_i32_e32 v4, 31, v3
	v_lshlrev_b64 v[8:9], 3, v[3:4]
	s_mov_b64 s[8:9], 0
	v_add_co_u32_e64 v4, s[0:1], v6, v8
	v_addc_co_u32_e64 v8, s[0:1], v7, v9, s[0:1]
	v_mov_b32_e32 v9, v0
.LBB5_5:                                ;   Parent Loop BB5_3 Depth=1
                                        ; =>  This Inner Loop Header: Depth=2
	v_mov_b32_e32 v2, s13
	v_add_co_u32_e64 v10, s[0:1], s12, v4
	v_addc_co_u32_e64 v11, s[0:1], v2, v8, s[0:1]
	global_load_dword v2, v[10:11], off
	v_mov_b32_e32 v11, s11
	v_add_co_u32_e64 v10, s[0:1], s10, v4
	v_addc_co_u32_e64 v11, s[0:1], v11, v8, s[0:1]
	v_mov_b32_e32 v14, s17
	global_load_dwordx2 v[10:11], v[10:11], off
	v_add_u32_e32 v9, s14, v9
	s_waitcnt vmcnt(1)
	v_ashrrev_i64 v[12:13], 29, v[1:2]
	v_add_co_u32_e64 v12, s[0:1], s16, v12
	v_addc_co_u32_e64 v13, s[0:1], v14, v13, s[0:1]
	global_load_dwordx2 v[14:15], v[12:13], off
	v_add_co_u32_e64 v4, s[0:1], s19, v4
	v_addc_co_u32_e64 v8, s[0:1], 0, v8, s[0:1]
	v_cmp_le_i32_e64 s[0:1], s3, v9
	s_or_b64 s[8:9], s[0:1], s[8:9]
	s_waitcnt vmcnt(0)
	v_add_f64 v[10:11], v[10:11], v[14:15]
	global_store_dwordx2 v[12:13], v[10:11], off
	s_andn2_b64 exec, exec, s[8:9]
	s_cbranch_execnz .LBB5_5
	s_branch .LBB5_2
.LBB5_6:
	s_endpgm
	.section	.rodata,"a",@progbits
	.p2align	6, 0x0
	.amdhsa_kernel _ZN2at6native12_GLOBAL__N_120adaptivemaxgradinputIdEEvPT_PKS3_PKliiii
		.amdhsa_group_segment_fixed_size 0
		.amdhsa_private_segment_fixed_size 0
		.amdhsa_kernarg_size 296
		.amdhsa_user_sgpr_count 6
		.amdhsa_user_sgpr_private_segment_buffer 1
		.amdhsa_user_sgpr_dispatch_ptr 0
		.amdhsa_user_sgpr_queue_ptr 0
		.amdhsa_user_sgpr_kernarg_segment_ptr 1
		.amdhsa_user_sgpr_dispatch_id 0
		.amdhsa_user_sgpr_flat_scratch_init 0
		.amdhsa_user_sgpr_private_segment_size 0
		.amdhsa_uses_dynamic_stack 0
		.amdhsa_system_sgpr_private_segment_wavefront_offset 0
		.amdhsa_system_sgpr_workgroup_id_x 1
		.amdhsa_system_sgpr_workgroup_id_y 1
		.amdhsa_system_sgpr_workgroup_id_z 0
		.amdhsa_system_sgpr_workgroup_info 0
		.amdhsa_system_vgpr_workitem_id 1
		.amdhsa_next_free_vgpr 16
		.amdhsa_next_free_sgpr 20
		.amdhsa_reserve_vcc 1
		.amdhsa_reserve_flat_scratch 0
		.amdhsa_float_round_mode_32 0
		.amdhsa_float_round_mode_16_64 0
		.amdhsa_float_denorm_mode_32 3
		.amdhsa_float_denorm_mode_16_64 3
		.amdhsa_dx10_clamp 1
		.amdhsa_ieee_mode 1
		.amdhsa_fp16_overflow 0
		.amdhsa_exception_fp_ieee_invalid_op 0
		.amdhsa_exception_fp_denorm_src 0
		.amdhsa_exception_fp_ieee_div_zero 0
		.amdhsa_exception_fp_ieee_overflow 0
		.amdhsa_exception_fp_ieee_underflow 0
		.amdhsa_exception_fp_ieee_inexact 0
		.amdhsa_exception_int_div_zero 0
	.end_amdhsa_kernel
	.section	.text._ZN2at6native12_GLOBAL__N_120adaptivemaxgradinputIdEEvPT_PKS3_PKliiii,"axG",@progbits,_ZN2at6native12_GLOBAL__N_120adaptivemaxgradinputIdEEvPT_PKS3_PKliiii,comdat
.Lfunc_end5:
	.size	_ZN2at6native12_GLOBAL__N_120adaptivemaxgradinputIdEEvPT_PKS3_PKliiii, .Lfunc_end5-_ZN2at6native12_GLOBAL__N_120adaptivemaxgradinputIdEEvPT_PKS3_PKliiii
                                        ; -- End function
	.set _ZN2at6native12_GLOBAL__N_120adaptivemaxgradinputIdEEvPT_PKS3_PKliiii.num_vgpr, 16
	.set _ZN2at6native12_GLOBAL__N_120adaptivemaxgradinputIdEEvPT_PKS3_PKliiii.num_agpr, 0
	.set _ZN2at6native12_GLOBAL__N_120adaptivemaxgradinputIdEEvPT_PKS3_PKliiii.numbered_sgpr, 20
	.set _ZN2at6native12_GLOBAL__N_120adaptivemaxgradinputIdEEvPT_PKS3_PKliiii.num_named_barrier, 0
	.set _ZN2at6native12_GLOBAL__N_120adaptivemaxgradinputIdEEvPT_PKS3_PKliiii.private_seg_size, 0
	.set _ZN2at6native12_GLOBAL__N_120adaptivemaxgradinputIdEEvPT_PKS3_PKliiii.uses_vcc, 1
	.set _ZN2at6native12_GLOBAL__N_120adaptivemaxgradinputIdEEvPT_PKS3_PKliiii.uses_flat_scratch, 0
	.set _ZN2at6native12_GLOBAL__N_120adaptivemaxgradinputIdEEvPT_PKS3_PKliiii.has_dyn_sized_stack, 0
	.set _ZN2at6native12_GLOBAL__N_120adaptivemaxgradinputIdEEvPT_PKS3_PKliiii.has_recursion, 0
	.set _ZN2at6native12_GLOBAL__N_120adaptivemaxgradinputIdEEvPT_PKS3_PKliiii.has_indirect_call, 0
	.section	.AMDGPU.csdata,"",@progbits
; Kernel info:
; codeLenInByte = 428
; TotalNumSgprs: 24
; NumVgprs: 16
; ScratchSize: 0
; MemoryBound: 0
; FloatMode: 240
; IeeeMode: 1
; LDSByteSize: 0 bytes/workgroup (compile time only)
; SGPRBlocks: 2
; VGPRBlocks: 3
; NumSGPRsForWavesPerEU: 24
; NumVGPRsForWavesPerEU: 16
; Occupancy: 10
; WaveLimiterHint : 1
; COMPUTE_PGM_RSRC2:SCRATCH_EN: 0
; COMPUTE_PGM_RSRC2:USER_SGPR: 6
; COMPUTE_PGM_RSRC2:TRAP_HANDLER: 0
; COMPUTE_PGM_RSRC2:TGID_X_EN: 1
; COMPUTE_PGM_RSRC2:TGID_Y_EN: 1
; COMPUTE_PGM_RSRC2:TGID_Z_EN: 0
; COMPUTE_PGM_RSRC2:TIDIG_COMP_CNT: 1
	.section	.text._ZN2at6native12_GLOBAL__N_126atomicadaptivemaxgradinputIfEEvPT_PKS3_PKliiii,"axG",@progbits,_ZN2at6native12_GLOBAL__N_126atomicadaptivemaxgradinputIfEEvPT_PKS3_PKliiii,comdat
	.globl	_ZN2at6native12_GLOBAL__N_126atomicadaptivemaxgradinputIfEEvPT_PKS3_PKliiii ; -- Begin function _ZN2at6native12_GLOBAL__N_126atomicadaptivemaxgradinputIfEEvPT_PKS3_PKliiii
	.p2align	8
	.type	_ZN2at6native12_GLOBAL__N_126atomicadaptivemaxgradinputIfEEvPT_PKS3_PKliiii,@function
_ZN2at6native12_GLOBAL__N_126atomicadaptivemaxgradinputIfEEvPT_PKS3_PKliiii: ; @_ZN2at6native12_GLOBAL__N_126atomicadaptivemaxgradinputIfEEvPT_PKS3_PKliiii
; %bb.0:
	s_load_dword s10, s[4:5], 0x34
	s_load_dwordx4 s[0:3], s[4:5], 0x18
	s_add_u32 s8, s4, 40
	s_addc_u32 s9, s5, 0
	s_waitcnt lgkmcnt(0)
	s_lshr_b32 s11, s10, 16
	s_mul_i32 s7, s7, s11
	v_add_u32_e32 v7, s7, v1
	v_cmp_gt_i32_e32 vcc, s2, v7
	s_and_saveexec_b64 s[12:13], vcc
	s_cbranch_execz .LBB6_8
; %bb.1:
	s_load_dword s13, s[8:9], 0x4
	s_load_dwordx4 s[16:19], s[4:5], 0x0
	s_load_dwordx2 s[20:21], s[4:5], 0x10
	s_mul_i32 s4, s2, s6
	s_mul_i32 s4, s4, s3
	s_ashr_i32 s5, s4, 31
	s_and_b32 s12, s10, 0xffff
	s_lshl_b64 s[8:9], s[4:5], 2
	s_mul_i32 s0, s0, s6
	s_waitcnt lgkmcnt(0)
	s_add_u32 s14, s18, s8
	s_mul_i32 s0, s0, s1
	s_addc_u32 s15, s19, s9
	s_ashr_i32 s1, s0, 31
	s_lshl_b64 s[0:1], s[0:1], 2
	s_add_u32 s16, s16, s0
	s_addc_u32 s6, s17, s1
	s_lshl_b64 s[0:1], s[4:5], 3
	s_add_u32 s17, s20, s0
	s_mul_i32 s13, s13, s11
	s_addc_u32 s18, s21, s1
	v_cmp_gt_i32_e32 vcc, s3, v0
	s_mov_b64 s[4:5], 0
	v_mov_b32_e32 v2, 0
	v_mov_b32_e32 v8, s6
	s_branch .LBB6_3
.LBB6_2:                                ;   in Loop: Header=BB6_3 Depth=1
	s_or_b64 exec, exec, s[6:7]
	v_add_u32_e32 v7, s13, v7
	v_cmp_le_i32_e64 s[0:1], s2, v7
	s_or_b64 s[4:5], s[0:1], s[4:5]
	s_andn2_b64 exec, exec, s[4:5]
	s_cbranch_execz .LBB6_8
.LBB6_3:                                ; =>This Loop Header: Depth=1
                                        ;     Child Loop BB6_5 Depth 2
                                        ;       Child Loop BB6_6 Depth 3
	s_and_saveexec_b64 s[6:7], vcc
	s_cbranch_execz .LBB6_2
; %bb.4:                                ;   in Loop: Header=BB6_3 Depth=1
	v_mul_lo_u32 v3, v7, s3
	v_mov_b32_e32 v1, s15
	s_mov_b64 s[8:9], 0
	v_ashrrev_i32_e32 v4, 31, v3
	v_lshlrev_b64 v[5:6], 2, v[3:4]
	v_lshlrev_b64 v[3:4], 3, v[3:4]
	v_add_co_u32_e64 v9, s[0:1], s14, v5
	v_addc_co_u32_e64 v10, s[0:1], v1, v6, s[0:1]
	v_mov_b32_e32 v1, s18
	v_add_co_u32_e64 v11, s[0:1], s17, v3
	v_addc_co_u32_e64 v12, s[0:1], v1, v4, s[0:1]
	v_mov_b32_e32 v1, v0
.LBB6_5:                                ;   Parent Loop BB6_3 Depth=1
                                        ; =>  This Loop Header: Depth=2
                                        ;       Child Loop BB6_6 Depth 3
	v_lshlrev_b64 v[3:4], 3, v[1:2]
	v_lshlrev_b64 v[5:6], 2, v[1:2]
	v_add_co_u32_e64 v3, s[0:1], v11, v3
	v_addc_co_u32_e64 v4, s[0:1], v12, v4, s[0:1]
	global_load_dword v4, v[3:4], off
	v_mov_b32_e32 v3, v2
	v_add_co_u32_e64 v5, s[0:1], v9, v5
	v_addc_co_u32_e64 v6, s[0:1], v10, v6, s[0:1]
	global_load_dword v13, v[5:6], off
	s_mov_b64 s[10:11], 0
	s_waitcnt vmcnt(1)
	v_ashrrev_i64 v[3:4], 30, v[3:4]
	v_add_co_u32_e64 v3, s[0:1], s16, v3
	v_addc_co_u32_e64 v4, s[0:1], v8, v4, s[0:1]
	global_load_dword v6, v[3:4], off
.LBB6_6:                                ;   Parent Loop BB6_3 Depth=1
                                        ;     Parent Loop BB6_5 Depth=2
                                        ; =>    This Inner Loop Header: Depth=3
	s_waitcnt vmcnt(0)
	v_add_f32_e32 v5, v6, v13
	global_atomic_cmpswap v5, v[3:4], v[5:6], off glc
	s_waitcnt vmcnt(0)
	v_cmp_eq_u32_e64 s[0:1], v5, v6
	s_or_b64 s[10:11], s[0:1], s[10:11]
	v_mov_b32_e32 v6, v5
	s_andn2_b64 exec, exec, s[10:11]
	s_cbranch_execnz .LBB6_6
; %bb.7:                                ;   in Loop: Header=BB6_5 Depth=2
	s_or_b64 exec, exec, s[10:11]
	v_add_u32_e32 v1, s12, v1
	v_cmp_le_i32_e64 s[0:1], s3, v1
	s_or_b64 s[8:9], s[0:1], s[8:9]
	s_andn2_b64 exec, exec, s[8:9]
	s_cbranch_execnz .LBB6_5
	s_branch .LBB6_2
.LBB6_8:
	s_endpgm
	.section	.rodata,"a",@progbits
	.p2align	6, 0x0
	.amdhsa_kernel _ZN2at6native12_GLOBAL__N_126atomicadaptivemaxgradinputIfEEvPT_PKS3_PKliiii
		.amdhsa_group_segment_fixed_size 0
		.amdhsa_private_segment_fixed_size 0
		.amdhsa_kernarg_size 296
		.amdhsa_user_sgpr_count 6
		.amdhsa_user_sgpr_private_segment_buffer 1
		.amdhsa_user_sgpr_dispatch_ptr 0
		.amdhsa_user_sgpr_queue_ptr 0
		.amdhsa_user_sgpr_kernarg_segment_ptr 1
		.amdhsa_user_sgpr_dispatch_id 0
		.amdhsa_user_sgpr_flat_scratch_init 0
		.amdhsa_user_sgpr_private_segment_size 0
		.amdhsa_uses_dynamic_stack 0
		.amdhsa_system_sgpr_private_segment_wavefront_offset 0
		.amdhsa_system_sgpr_workgroup_id_x 1
		.amdhsa_system_sgpr_workgroup_id_y 1
		.amdhsa_system_sgpr_workgroup_id_z 0
		.amdhsa_system_sgpr_workgroup_info 0
		.amdhsa_system_vgpr_workitem_id 1
		.amdhsa_next_free_vgpr 14
		.amdhsa_next_free_sgpr 22
		.amdhsa_reserve_vcc 1
		.amdhsa_reserve_flat_scratch 0
		.amdhsa_float_round_mode_32 0
		.amdhsa_float_round_mode_16_64 0
		.amdhsa_float_denorm_mode_32 3
		.amdhsa_float_denorm_mode_16_64 3
		.amdhsa_dx10_clamp 1
		.amdhsa_ieee_mode 1
		.amdhsa_fp16_overflow 0
		.amdhsa_exception_fp_ieee_invalid_op 0
		.amdhsa_exception_fp_denorm_src 0
		.amdhsa_exception_fp_ieee_div_zero 0
		.amdhsa_exception_fp_ieee_overflow 0
		.amdhsa_exception_fp_ieee_underflow 0
		.amdhsa_exception_fp_ieee_inexact 0
		.amdhsa_exception_int_div_zero 0
	.end_amdhsa_kernel
	.section	.text._ZN2at6native12_GLOBAL__N_126atomicadaptivemaxgradinputIfEEvPT_PKS3_PKliiii,"axG",@progbits,_ZN2at6native12_GLOBAL__N_126atomicadaptivemaxgradinputIfEEvPT_PKS3_PKliiii,comdat
.Lfunc_end6:
	.size	_ZN2at6native12_GLOBAL__N_126atomicadaptivemaxgradinputIfEEvPT_PKS3_PKliiii, .Lfunc_end6-_ZN2at6native12_GLOBAL__N_126atomicadaptivemaxgradinputIfEEvPT_PKS3_PKliiii
                                        ; -- End function
	.set _ZN2at6native12_GLOBAL__N_126atomicadaptivemaxgradinputIfEEvPT_PKS3_PKliiii.num_vgpr, 14
	.set _ZN2at6native12_GLOBAL__N_126atomicadaptivemaxgradinputIfEEvPT_PKS3_PKliiii.num_agpr, 0
	.set _ZN2at6native12_GLOBAL__N_126atomicadaptivemaxgradinputIfEEvPT_PKS3_PKliiii.numbered_sgpr, 22
	.set _ZN2at6native12_GLOBAL__N_126atomicadaptivemaxgradinputIfEEvPT_PKS3_PKliiii.num_named_barrier, 0
	.set _ZN2at6native12_GLOBAL__N_126atomicadaptivemaxgradinputIfEEvPT_PKS3_PKliiii.private_seg_size, 0
	.set _ZN2at6native12_GLOBAL__N_126atomicadaptivemaxgradinputIfEEvPT_PKS3_PKliiii.uses_vcc, 1
	.set _ZN2at6native12_GLOBAL__N_126atomicadaptivemaxgradinputIfEEvPT_PKS3_PKliiii.uses_flat_scratch, 0
	.set _ZN2at6native12_GLOBAL__N_126atomicadaptivemaxgradinputIfEEvPT_PKS3_PKliiii.has_dyn_sized_stack, 0
	.set _ZN2at6native12_GLOBAL__N_126atomicadaptivemaxgradinputIfEEvPT_PKS3_PKliiii.has_recursion, 0
	.set _ZN2at6native12_GLOBAL__N_126atomicadaptivemaxgradinputIfEEvPT_PKS3_PKliiii.has_indirect_call, 0
	.section	.AMDGPU.csdata,"",@progbits
; Kernel info:
; codeLenInByte = 472
; TotalNumSgprs: 26
; NumVgprs: 14
; ScratchSize: 0
; MemoryBound: 0
; FloatMode: 240
; IeeeMode: 1
; LDSByteSize: 0 bytes/workgroup (compile time only)
; SGPRBlocks: 3
; VGPRBlocks: 3
; NumSGPRsForWavesPerEU: 26
; NumVGPRsForWavesPerEU: 14
; Occupancy: 10
; WaveLimiterHint : 1
; COMPUTE_PGM_RSRC2:SCRATCH_EN: 0
; COMPUTE_PGM_RSRC2:USER_SGPR: 6
; COMPUTE_PGM_RSRC2:TRAP_HANDLER: 0
; COMPUTE_PGM_RSRC2:TGID_X_EN: 1
; COMPUTE_PGM_RSRC2:TGID_Y_EN: 1
; COMPUTE_PGM_RSRC2:TGID_Z_EN: 0
; COMPUTE_PGM_RSRC2:TIDIG_COMP_CNT: 1
	.section	.text._ZN2at6native12_GLOBAL__N_120adaptivemaxgradinputIfEEvPT_PKS3_PKliiii,"axG",@progbits,_ZN2at6native12_GLOBAL__N_120adaptivemaxgradinputIfEEvPT_PKS3_PKliiii,comdat
	.globl	_ZN2at6native12_GLOBAL__N_120adaptivemaxgradinputIfEEvPT_PKS3_PKliiii ; -- Begin function _ZN2at6native12_GLOBAL__N_120adaptivemaxgradinputIfEEvPT_PKS3_PKliiii
	.p2align	8
	.type	_ZN2at6native12_GLOBAL__N_120adaptivemaxgradinputIfEEvPT_PKS3_PKliiii,@function
_ZN2at6native12_GLOBAL__N_120adaptivemaxgradinputIfEEvPT_PKS3_PKliiii: ; @_ZN2at6native12_GLOBAL__N_120adaptivemaxgradinputIfEEvPT_PKS3_PKliiii
; %bb.0:
	s_load_dword s10, s[4:5], 0x34
	s_load_dwordx4 s[0:3], s[4:5], 0x18
	s_add_u32 s8, s4, 40
	s_addc_u32 s9, s5, 0
	s_waitcnt lgkmcnt(0)
	s_lshr_b32 s11, s10, 16
	s_mul_i32 s7, s7, s11
	v_add_u32_e32 v9, s7, v1
	v_cmp_gt_i32_e32 vcc, s2, v9
	s_and_saveexec_b64 s[12:13], vcc
	s_cbranch_execz .LBB7_6
; %bb.1:
	s_load_dword s7, s[8:9], 0x4
	s_load_dwordx4 s[12:15], s[4:5], 0x0
	s_load_dwordx2 s[16:17], s[4:5], 0x10
	s_mul_i32 s0, s0, s6
	s_mul_i32 s4, s2, s6
	;; [unrolled: 1-line block ×4, first 2 shown]
	s_ashr_i32 s1, s0, 31
	s_and_b32 s10, s10, 0xffff
	s_ashr_i32 s5, s4, 31
	s_lshl_b64 s[0:1], s[0:1], 2
	s_waitcnt lgkmcnt(0)
	s_add_u32 s12, s12, s0
	s_addc_u32 s13, s13, s1
	s_lshl_b64 s[0:1], s[4:5], 2
	s_add_u32 s0, s14, s0
	v_lshlrev_b32_e32 v2, 2, v0
	s_addc_u32 s1, s15, s1
	v_mov_b32_e32 v3, s1
	v_add_co_u32_e64 v10, s[0:1], s0, v2
	v_addc_co_u32_e64 v11, s[0:1], 0, v3, s[0:1]
	s_lshl_b32 s15, s10, 2
	s_lshl_b64 s[0:1], s[4:5], 3
	v_mul_lo_u32 v3, s3, v9
	s_add_u32 s0, s16, s0
	v_lshlrev_b32_e32 v2, 3, v0
	s_addc_u32 s1, s17, s1
	s_mul_i32 s11, s7, s11
	v_mov_b32_e32 v4, s1
	v_add_co_u32_e64 v12, s[0:1], s0, v2
	v_cmp_gt_i32_e32 vcc, s3, v0
	v_mov_b32_e32 v1, 0
	s_mul_i32 s14, s11, s3
	v_addc_co_u32_e64 v13, s[0:1], 0, v4, s[0:1]
	s_lshl_b32 s16, s10, 3
	s_mov_b64 s[4:5], 0
	s_branch .LBB7_3
.LBB7_2:                                ;   in Loop: Header=BB7_3 Depth=1
	s_or_b64 exec, exec, s[6:7]
	v_add_u32_e32 v9, s11, v9
	v_cmp_le_i32_e64 s[0:1], s2, v9
	s_or_b64 s[4:5], s[0:1], s[4:5]
	v_add_u32_e32 v3, s14, v3
	s_andn2_b64 exec, exec, s[4:5]
	s_cbranch_execz .LBB7_6
.LBB7_3:                                ; =>This Loop Header: Depth=1
                                        ;     Child Loop BB7_5 Depth 2
	s_and_saveexec_b64 s[6:7], vcc
	s_cbranch_execz .LBB7_2
; %bb.4:                                ;   in Loop: Header=BB7_3 Depth=1
	v_ashrrev_i32_e32 v4, 31, v3
	v_lshlrev_b64 v[5:6], 2, v[3:4]
	v_lshlrev_b64 v[7:8], 3, v[3:4]
	v_add_co_u32_e64 v5, s[0:1], v10, v5
	v_addc_co_u32_e64 v6, s[0:1], v11, v6, s[0:1]
	v_add_co_u32_e64 v7, s[0:1], v12, v7
	v_addc_co_u32_e64 v8, s[0:1], v13, v8, s[0:1]
	s_mov_b64 s[8:9], 0
	v_mov_b32_e32 v4, v0
.LBB7_5:                                ;   Parent Loop BB7_3 Depth=1
                                        ; =>  This Inner Loop Header: Depth=2
	global_load_dword v2, v[7:8], off
	global_load_dword v16, v[5:6], off
	v_mov_b32_e32 v17, s13
	v_add_u32_e32 v4, s10, v4
	s_waitcnt vmcnt(1)
	v_ashrrev_i64 v[14:15], 30, v[1:2]
	v_add_co_u32_e64 v14, s[0:1], s12, v14
	v_addc_co_u32_e64 v15, s[0:1], v17, v15, s[0:1]
	global_load_dword v2, v[14:15], off
	v_add_co_u32_e64 v5, s[0:1], s15, v5
	v_addc_co_u32_e64 v6, s[0:1], 0, v6, s[0:1]
	v_add_co_u32_e64 v7, s[0:1], s16, v7
	v_addc_co_u32_e64 v8, s[0:1], 0, v8, s[0:1]
	v_cmp_le_i32_e64 s[0:1], s3, v4
	s_or_b64 s[8:9], s[0:1], s[8:9]
	s_waitcnt vmcnt(0)
	v_add_f32_e32 v2, v16, v2
	global_store_dword v[14:15], v2, off
	s_andn2_b64 exec, exec, s[8:9]
	s_cbranch_execnz .LBB7_5
	s_branch .LBB7_2
.LBB7_6:
	s_endpgm
	.section	.rodata,"a",@progbits
	.p2align	6, 0x0
	.amdhsa_kernel _ZN2at6native12_GLOBAL__N_120adaptivemaxgradinputIfEEvPT_PKS3_PKliiii
		.amdhsa_group_segment_fixed_size 0
		.amdhsa_private_segment_fixed_size 0
		.amdhsa_kernarg_size 296
		.amdhsa_user_sgpr_count 6
		.amdhsa_user_sgpr_private_segment_buffer 1
		.amdhsa_user_sgpr_dispatch_ptr 0
		.amdhsa_user_sgpr_queue_ptr 0
		.amdhsa_user_sgpr_kernarg_segment_ptr 1
		.amdhsa_user_sgpr_dispatch_id 0
		.amdhsa_user_sgpr_flat_scratch_init 0
		.amdhsa_user_sgpr_private_segment_size 0
		.amdhsa_uses_dynamic_stack 0
		.amdhsa_system_sgpr_private_segment_wavefront_offset 0
		.amdhsa_system_sgpr_workgroup_id_x 1
		.amdhsa_system_sgpr_workgroup_id_y 1
		.amdhsa_system_sgpr_workgroup_id_z 0
		.amdhsa_system_sgpr_workgroup_info 0
		.amdhsa_system_vgpr_workitem_id 1
		.amdhsa_next_free_vgpr 18
		.amdhsa_next_free_sgpr 18
		.amdhsa_reserve_vcc 1
		.amdhsa_reserve_flat_scratch 0
		.amdhsa_float_round_mode_32 0
		.amdhsa_float_round_mode_16_64 0
		.amdhsa_float_denorm_mode_32 3
		.amdhsa_float_denorm_mode_16_64 3
		.amdhsa_dx10_clamp 1
		.amdhsa_ieee_mode 1
		.amdhsa_fp16_overflow 0
		.amdhsa_exception_fp_ieee_invalid_op 0
		.amdhsa_exception_fp_denorm_src 0
		.amdhsa_exception_fp_ieee_div_zero 0
		.amdhsa_exception_fp_ieee_overflow 0
		.amdhsa_exception_fp_ieee_underflow 0
		.amdhsa_exception_fp_ieee_inexact 0
		.amdhsa_exception_int_div_zero 0
	.end_amdhsa_kernel
	.section	.text._ZN2at6native12_GLOBAL__N_120adaptivemaxgradinputIfEEvPT_PKS3_PKliiii,"axG",@progbits,_ZN2at6native12_GLOBAL__N_120adaptivemaxgradinputIfEEvPT_PKS3_PKliiii,comdat
.Lfunc_end7:
	.size	_ZN2at6native12_GLOBAL__N_120adaptivemaxgradinputIfEEvPT_PKS3_PKliiii, .Lfunc_end7-_ZN2at6native12_GLOBAL__N_120adaptivemaxgradinputIfEEvPT_PKS3_PKliiii
                                        ; -- End function
	.set _ZN2at6native12_GLOBAL__N_120adaptivemaxgradinputIfEEvPT_PKS3_PKliiii.num_vgpr, 18
	.set _ZN2at6native12_GLOBAL__N_120adaptivemaxgradinputIfEEvPT_PKS3_PKliiii.num_agpr, 0
	.set _ZN2at6native12_GLOBAL__N_120adaptivemaxgradinputIfEEvPT_PKS3_PKliiii.numbered_sgpr, 18
	.set _ZN2at6native12_GLOBAL__N_120adaptivemaxgradinputIfEEvPT_PKS3_PKliiii.num_named_barrier, 0
	.set _ZN2at6native12_GLOBAL__N_120adaptivemaxgradinputIfEEvPT_PKS3_PKliiii.private_seg_size, 0
	.set _ZN2at6native12_GLOBAL__N_120adaptivemaxgradinputIfEEvPT_PKS3_PKliiii.uses_vcc, 1
	.set _ZN2at6native12_GLOBAL__N_120adaptivemaxgradinputIfEEvPT_PKS3_PKliiii.uses_flat_scratch, 0
	.set _ZN2at6native12_GLOBAL__N_120adaptivemaxgradinputIfEEvPT_PKS3_PKliiii.has_dyn_sized_stack, 0
	.set _ZN2at6native12_GLOBAL__N_120adaptivemaxgradinputIfEEvPT_PKS3_PKliiii.has_recursion, 0
	.set _ZN2at6native12_GLOBAL__N_120adaptivemaxgradinputIfEEvPT_PKS3_PKliiii.has_indirect_call, 0
	.section	.AMDGPU.csdata,"",@progbits
; Kernel info:
; codeLenInByte = 472
; TotalNumSgprs: 22
; NumVgprs: 18
; ScratchSize: 0
; MemoryBound: 0
; FloatMode: 240
; IeeeMode: 1
; LDSByteSize: 0 bytes/workgroup (compile time only)
; SGPRBlocks: 2
; VGPRBlocks: 4
; NumSGPRsForWavesPerEU: 22
; NumVGPRsForWavesPerEU: 18
; Occupancy: 10
; WaveLimiterHint : 1
; COMPUTE_PGM_RSRC2:SCRATCH_EN: 0
; COMPUTE_PGM_RSRC2:USER_SGPR: 6
; COMPUTE_PGM_RSRC2:TRAP_HANDLER: 0
; COMPUTE_PGM_RSRC2:TGID_X_EN: 1
; COMPUTE_PGM_RSRC2:TGID_Y_EN: 1
; COMPUTE_PGM_RSRC2:TGID_Z_EN: 0
; COMPUTE_PGM_RSRC2:TIDIG_COMP_CNT: 1
	.section	.text._ZN2at6native12_GLOBAL__N_126atomicadaptivemaxgradinputIN3c104HalfEEEvPT_PKS5_PKliiii,"axG",@progbits,_ZN2at6native12_GLOBAL__N_126atomicadaptivemaxgradinputIN3c104HalfEEEvPT_PKS5_PKliiii,comdat
	.globl	_ZN2at6native12_GLOBAL__N_126atomicadaptivemaxgradinputIN3c104HalfEEEvPT_PKS5_PKliiii ; -- Begin function _ZN2at6native12_GLOBAL__N_126atomicadaptivemaxgradinputIN3c104HalfEEEvPT_PKS5_PKliiii
	.p2align	8
	.type	_ZN2at6native12_GLOBAL__N_126atomicadaptivemaxgradinputIN3c104HalfEEEvPT_PKS5_PKliiii,@function
_ZN2at6native12_GLOBAL__N_126atomicadaptivemaxgradinputIN3c104HalfEEEvPT_PKS5_PKliiii: ; @_ZN2at6native12_GLOBAL__N_126atomicadaptivemaxgradinputIN3c104HalfEEEvPT_PKS5_PKliiii
; %bb.0:
	s_load_dword s2, s[4:5], 0x34
	s_load_dwordx4 s[8:11], s[4:5], 0x18
	s_add_u32 s0, s4, 40
	s_addc_u32 s1, s5, 0
	s_waitcnt lgkmcnt(0)
	s_lshr_b32 s3, s2, 16
	s_mul_i32 s7, s7, s3
	v_add_u32_e32 v7, s7, v1
	v_cmp_gt_i32_e32 vcc, s10, v7
	s_and_saveexec_b64 s[12:13], vcc
	s_cbranch_execz .LBB8_12
; %bb.1:
	s_load_dword s17, s[0:1], 0x4
	s_load_dwordx4 s[12:15], s[4:5], 0x0
	s_load_dwordx2 s[22:23], s[4:5], 0x10
	s_mul_i32 s0, s10, s6
	s_mul_i32 s0, s0, s11
	s_ashr_i32 s1, s0, 31
	s_and_b32 s16, s2, 0xffff
	s_waitcnt lgkmcnt(0)
	s_mul_i32 s17, s17, s3
	s_lshl_b64 s[2:3], s[0:1], 1
	s_add_u32 s18, s14, s2
	s_mul_i32 s2, s8, s6
	s_mul_i32 s2, s2, s9
	s_addc_u32 s19, s15, s3
	s_ashr_i32 s3, s2, 31
	s_lshl_b64 s[2:3], s[2:3], 1
	s_add_u32 s20, s12, s2
	s_addc_u32 s2, s13, s3
	s_lshl_b64 s[0:1], s[0:1], 3
	s_add_u32 s21, s22, s0
	s_addc_u32 s22, s23, s1
	v_cmp_gt_i32_e64 s[0:1], s11, v0
	s_mov_b64 s[6:7], 0
	v_mov_b32_e32 v2, 0
	v_mov_b32_e32 v8, s2
	s_mov_b32 s23, 0xffff0000
	s_branch .LBB8_3
.LBB8_2:                                ;   in Loop: Header=BB8_3 Depth=1
	s_or_b64 exec, exec, s[8:9]
	v_add_u32_e32 v7, s17, v7
	v_cmp_le_i32_e32 vcc, s10, v7
	s_or_b64 s[6:7], vcc, s[6:7]
	s_andn2_b64 exec, exec, s[6:7]
	s_cbranch_execz .LBB8_12
.LBB8_3:                                ; =>This Loop Header: Depth=1
                                        ;     Child Loop BB8_6 Depth 2
                                        ;       Child Loop BB8_8 Depth 3
	s_and_saveexec_b64 s[8:9], s[0:1]
	s_cbranch_execz .LBB8_2
; %bb.4:                                ;   in Loop: Header=BB8_3 Depth=1
	v_mul_lo_u32 v3, v7, s11
	v_mov_b32_e32 v1, s19
	s_mov_b64 s[12:13], 0
	v_ashrrev_i32_e32 v4, 31, v3
	v_lshlrev_b64 v[5:6], 1, v[3:4]
	v_lshlrev_b64 v[3:4], 3, v[3:4]
	v_add_co_u32_e32 v9, vcc, s18, v5
	v_addc_co_u32_e32 v10, vcc, v1, v6, vcc
	v_mov_b32_e32 v1, s22
	v_add_co_u32_e32 v11, vcc, s21, v3
	v_addc_co_u32_e32 v12, vcc, v1, v4, vcc
	v_mov_b32_e32 v1, v0
	s_branch .LBB8_6
.LBB8_5:                                ;   in Loop: Header=BB8_6 Depth=2
	s_or_b64 exec, exec, s[14:15]
	v_add_u32_e32 v1, s16, v1
	v_cmp_le_i32_e32 vcc, s11, v1
	s_or_b64 s[12:13], vcc, s[12:13]
	s_andn2_b64 exec, exec, s[12:13]
	s_cbranch_execz .LBB8_2
.LBB8_6:                                ;   Parent Loop BB8_3 Depth=1
                                        ; =>  This Loop Header: Depth=2
                                        ;       Child Loop BB8_8 Depth 3
	v_lshlrev_b64 v[3:4], 3, v[1:2]
	v_lshlrev_b64 v[5:6], 1, v[1:2]
	v_add_co_u32_e32 v3, vcc, v11, v3
	v_addc_co_u32_e32 v4, vcc, v12, v4, vcc
	global_load_dword v4, v[3:4], off
	v_mov_b32_e32 v3, v2
	v_add_co_u32_e32 v5, vcc, v9, v5
	v_addc_co_u32_e32 v6, vcc, v10, v6, vcc
	global_load_ushort v13, v[5:6], off
	v_mov_b32_e32 v15, v2
	s_mov_b64 s[14:15], 0
	s_waitcnt vmcnt(1)
	v_ashrrev_i64 v[3:4], 31, v[3:4]
	v_add_co_u32_e32 v3, vcc, s20, v3
	v_addc_co_u32_e32 v4, vcc, v8, v4, vcc
	v_and_b32_e32 v14, 2, v3
	v_sub_co_u32_e32 v5, vcc, 0, v14
	v_subb_co_u32_e64 v6, s[2:3], 0, 0, vcc
	v_add_co_u32_e32 v3, vcc, v3, v5
	v_addc_co_u32_e32 v4, vcc, v4, v6, vcc
	global_load_dword v6, v[3:4], off
	v_cmp_eq_u64_e32 vcc, 0, v[14:15]
	v_cmp_ne_u32_e64 s[2:3], 0, v14
	s_branch .LBB8_8
.LBB8_7:                                ;   in Loop: Header=BB8_8 Depth=3
	s_or_b64 exec, exec, s[4:5]
	global_atomic_cmpswap v5, v[3:4], v[5:6], off glc
	s_waitcnt vmcnt(0)
	v_cmp_eq_u32_e64 s[4:5], v6, v5
	s_or_b64 s[14:15], s[4:5], s[14:15]
	v_mov_b32_e32 v6, v5
	s_andn2_b64 exec, exec, s[14:15]
	s_cbranch_execz .LBB8_5
.LBB8_8:                                ;   Parent Loop BB8_3 Depth=1
                                        ;     Parent Loop BB8_6 Depth=2
                                        ; =>    This Inner Loop Header: Depth=3
	s_waitcnt vmcnt(0)
	v_cndmask_b32_sdwa v5, v6, v6, vcc dst_sel:DWORD dst_unused:UNUSED_PAD src0_sel:WORD_1 src1_sel:DWORD
	v_add_f16_e32 v14, v13, v5
	s_and_saveexec_b64 s[4:5], s[2:3]
	s_xor_b64 s[4:5], exec, s[4:5]
; %bb.9:                                ;   in Loop: Header=BB8_8 Depth=3
	v_and_b32_e32 v5, 0xffff, v6
	v_lshl_or_b32 v5, v14, 16, v5
                                        ; implicit-def: $vgpr14
; %bb.10:                               ;   in Loop: Header=BB8_8 Depth=3
	s_andn2_saveexec_b64 s[4:5], s[4:5]
	s_cbranch_execz .LBB8_7
; %bb.11:                               ;   in Loop: Header=BB8_8 Depth=3
	v_and_or_b32 v5, v6, s23, v14
	s_branch .LBB8_7
.LBB8_12:
	s_endpgm
	.section	.rodata,"a",@progbits
	.p2align	6, 0x0
	.amdhsa_kernel _ZN2at6native12_GLOBAL__N_126atomicadaptivemaxgradinputIN3c104HalfEEEvPT_PKS5_PKliiii
		.amdhsa_group_segment_fixed_size 0
		.amdhsa_private_segment_fixed_size 0
		.amdhsa_kernarg_size 296
		.amdhsa_user_sgpr_count 6
		.amdhsa_user_sgpr_private_segment_buffer 1
		.amdhsa_user_sgpr_dispatch_ptr 0
		.amdhsa_user_sgpr_queue_ptr 0
		.amdhsa_user_sgpr_kernarg_segment_ptr 1
		.amdhsa_user_sgpr_dispatch_id 0
		.amdhsa_user_sgpr_flat_scratch_init 0
		.amdhsa_user_sgpr_private_segment_size 0
		.amdhsa_uses_dynamic_stack 0
		.amdhsa_system_sgpr_private_segment_wavefront_offset 0
		.amdhsa_system_sgpr_workgroup_id_x 1
		.amdhsa_system_sgpr_workgroup_id_y 1
		.amdhsa_system_sgpr_workgroup_id_z 0
		.amdhsa_system_sgpr_workgroup_info 0
		.amdhsa_system_vgpr_workitem_id 1
		.amdhsa_next_free_vgpr 16
		.amdhsa_next_free_sgpr 24
		.amdhsa_reserve_vcc 1
		.amdhsa_reserve_flat_scratch 0
		.amdhsa_float_round_mode_32 0
		.amdhsa_float_round_mode_16_64 0
		.amdhsa_float_denorm_mode_32 3
		.amdhsa_float_denorm_mode_16_64 3
		.amdhsa_dx10_clamp 1
		.amdhsa_ieee_mode 1
		.amdhsa_fp16_overflow 0
		.amdhsa_exception_fp_ieee_invalid_op 0
		.amdhsa_exception_fp_denorm_src 0
		.amdhsa_exception_fp_ieee_div_zero 0
		.amdhsa_exception_fp_ieee_overflow 0
		.amdhsa_exception_fp_ieee_underflow 0
		.amdhsa_exception_fp_ieee_inexact 0
		.amdhsa_exception_int_div_zero 0
	.end_amdhsa_kernel
	.section	.text._ZN2at6native12_GLOBAL__N_126atomicadaptivemaxgradinputIN3c104HalfEEEvPT_PKS5_PKliiii,"axG",@progbits,_ZN2at6native12_GLOBAL__N_126atomicadaptivemaxgradinputIN3c104HalfEEEvPT_PKS5_PKliiii,comdat
.Lfunc_end8:
	.size	_ZN2at6native12_GLOBAL__N_126atomicadaptivemaxgradinputIN3c104HalfEEEvPT_PKS5_PKliiii, .Lfunc_end8-_ZN2at6native12_GLOBAL__N_126atomicadaptivemaxgradinputIN3c104HalfEEEvPT_PKS5_PKliiii
                                        ; -- End function
	.set _ZN2at6native12_GLOBAL__N_126atomicadaptivemaxgradinputIN3c104HalfEEEvPT_PKS5_PKliiii.num_vgpr, 16
	.set _ZN2at6native12_GLOBAL__N_126atomicadaptivemaxgradinputIN3c104HalfEEEvPT_PKS5_PKliiii.num_agpr, 0
	.set _ZN2at6native12_GLOBAL__N_126atomicadaptivemaxgradinputIN3c104HalfEEEvPT_PKS5_PKliiii.numbered_sgpr, 24
	.set _ZN2at6native12_GLOBAL__N_126atomicadaptivemaxgradinputIN3c104HalfEEEvPT_PKS5_PKliiii.num_named_barrier, 0
	.set _ZN2at6native12_GLOBAL__N_126atomicadaptivemaxgradinputIN3c104HalfEEEvPT_PKS5_PKliiii.private_seg_size, 0
	.set _ZN2at6native12_GLOBAL__N_126atomicadaptivemaxgradinputIN3c104HalfEEEvPT_PKS5_PKliiii.uses_vcc, 1
	.set _ZN2at6native12_GLOBAL__N_126atomicadaptivemaxgradinputIN3c104HalfEEEvPT_PKS5_PKliiii.uses_flat_scratch, 0
	.set _ZN2at6native12_GLOBAL__N_126atomicadaptivemaxgradinputIN3c104HalfEEEvPT_PKS5_PKliiii.has_dyn_sized_stack, 0
	.set _ZN2at6native12_GLOBAL__N_126atomicadaptivemaxgradinputIN3c104HalfEEEvPT_PKS5_PKliiii.has_recursion, 0
	.set _ZN2at6native12_GLOBAL__N_126atomicadaptivemaxgradinputIN3c104HalfEEEvPT_PKS5_PKliiii.has_indirect_call, 0
	.section	.AMDGPU.csdata,"",@progbits
; Kernel info:
; codeLenInByte = 536
; TotalNumSgprs: 28
; NumVgprs: 16
; ScratchSize: 0
; MemoryBound: 0
; FloatMode: 240
; IeeeMode: 1
; LDSByteSize: 0 bytes/workgroup (compile time only)
; SGPRBlocks: 3
; VGPRBlocks: 3
; NumSGPRsForWavesPerEU: 28
; NumVGPRsForWavesPerEU: 16
; Occupancy: 10
; WaveLimiterHint : 1
; COMPUTE_PGM_RSRC2:SCRATCH_EN: 0
; COMPUTE_PGM_RSRC2:USER_SGPR: 6
; COMPUTE_PGM_RSRC2:TRAP_HANDLER: 0
; COMPUTE_PGM_RSRC2:TGID_X_EN: 1
; COMPUTE_PGM_RSRC2:TGID_Y_EN: 1
; COMPUTE_PGM_RSRC2:TGID_Z_EN: 0
; COMPUTE_PGM_RSRC2:TIDIG_COMP_CNT: 1
	.section	.text._ZN2at6native12_GLOBAL__N_120adaptivemaxgradinputIN3c104HalfEEEvPT_PKS5_PKliiii,"axG",@progbits,_ZN2at6native12_GLOBAL__N_120adaptivemaxgradinputIN3c104HalfEEEvPT_PKS5_PKliiii,comdat
	.globl	_ZN2at6native12_GLOBAL__N_120adaptivemaxgradinputIN3c104HalfEEEvPT_PKS5_PKliiii ; -- Begin function _ZN2at6native12_GLOBAL__N_120adaptivemaxgradinputIN3c104HalfEEEvPT_PKS5_PKliiii
	.p2align	8
	.type	_ZN2at6native12_GLOBAL__N_120adaptivemaxgradinputIN3c104HalfEEEvPT_PKS5_PKliiii,@function
_ZN2at6native12_GLOBAL__N_120adaptivemaxgradinputIN3c104HalfEEEvPT_PKS5_PKliiii: ; @_ZN2at6native12_GLOBAL__N_120adaptivemaxgradinputIN3c104HalfEEEvPT_PKS5_PKliiii
; %bb.0:
	s_load_dword s10, s[4:5], 0x34
	s_load_dwordx4 s[0:3], s[4:5], 0x18
	s_add_u32 s8, s4, 40
	s_addc_u32 s9, s5, 0
	s_waitcnt lgkmcnt(0)
	s_lshr_b32 s11, s10, 16
	s_mul_i32 s7, s7, s11
	v_add_u32_e32 v9, s7, v1
	v_cmp_gt_i32_e32 vcc, s2, v9
	s_and_saveexec_b64 s[12:13], vcc
	s_cbranch_execz .LBB9_6
; %bb.1:
	s_load_dword s7, s[8:9], 0x4
	s_load_dwordx4 s[12:15], s[4:5], 0x0
	s_load_dwordx2 s[16:17], s[4:5], 0x10
	s_mul_i32 s0, s0, s6
	s_mul_i32 s4, s2, s6
	;; [unrolled: 1-line block ×4, first 2 shown]
	s_ashr_i32 s1, s0, 31
	s_and_b32 s10, s10, 0xffff
	s_ashr_i32 s5, s4, 31
	s_lshl_b64 s[0:1], s[0:1], 1
	s_waitcnt lgkmcnt(0)
	s_add_u32 s12, s12, s0
	s_addc_u32 s13, s13, s1
	s_lshl_b64 s[0:1], s[4:5], 1
	s_add_u32 s0, s14, s0
	v_lshlrev_b32_e32 v2, 1, v0
	s_addc_u32 s1, s15, s1
	v_mov_b32_e32 v3, s1
	v_add_co_u32_e64 v10, s[0:1], s0, v2
	v_addc_co_u32_e64 v11, s[0:1], 0, v3, s[0:1]
	s_lshl_b32 s15, s10, 1
	s_lshl_b64 s[0:1], s[4:5], 3
	v_mul_lo_u32 v3, s3, v9
	s_add_u32 s0, s16, s0
	v_lshlrev_b32_e32 v2, 3, v0
	s_addc_u32 s1, s17, s1
	s_mul_i32 s11, s7, s11
	v_mov_b32_e32 v4, s1
	v_add_co_u32_e64 v12, s[0:1], s0, v2
	v_cmp_gt_i32_e32 vcc, s3, v0
	v_mov_b32_e32 v1, 0
	s_mul_i32 s14, s11, s3
	v_addc_co_u32_e64 v13, s[0:1], 0, v4, s[0:1]
	s_lshl_b32 s16, s10, 3
	s_mov_b64 s[4:5], 0
	s_branch .LBB9_3
.LBB9_2:                                ;   in Loop: Header=BB9_3 Depth=1
	s_or_b64 exec, exec, s[6:7]
	v_add_u32_e32 v9, s11, v9
	v_cmp_le_i32_e64 s[0:1], s2, v9
	s_or_b64 s[4:5], s[0:1], s[4:5]
	v_add_u32_e32 v3, s14, v3
	s_andn2_b64 exec, exec, s[4:5]
	s_cbranch_execz .LBB9_6
.LBB9_3:                                ; =>This Loop Header: Depth=1
                                        ;     Child Loop BB9_5 Depth 2
	s_and_saveexec_b64 s[6:7], vcc
	s_cbranch_execz .LBB9_2
; %bb.4:                                ;   in Loop: Header=BB9_3 Depth=1
	v_ashrrev_i32_e32 v4, 31, v3
	v_lshlrev_b64 v[5:6], 1, v[3:4]
	v_lshlrev_b64 v[7:8], 3, v[3:4]
	v_add_co_u32_e64 v5, s[0:1], v10, v5
	v_addc_co_u32_e64 v6, s[0:1], v11, v6, s[0:1]
	v_add_co_u32_e64 v7, s[0:1], v12, v7
	v_addc_co_u32_e64 v8, s[0:1], v13, v8, s[0:1]
	s_mov_b64 s[8:9], 0
	v_mov_b32_e32 v4, v0
.LBB9_5:                                ;   Parent Loop BB9_3 Depth=1
                                        ; =>  This Inner Loop Header: Depth=2
	global_load_dword v2, v[7:8], off
	global_load_ushort v16, v[5:6], off
	v_mov_b32_e32 v17, s13
	v_add_u32_e32 v4, s10, v4
	s_waitcnt vmcnt(1)
	v_ashrrev_i64 v[14:15], 31, v[1:2]
	v_add_co_u32_e64 v14, s[0:1], s12, v14
	v_addc_co_u32_e64 v15, s[0:1], v17, v15, s[0:1]
	global_load_ushort v2, v[14:15], off
	v_add_co_u32_e64 v5, s[0:1], s15, v5
	v_addc_co_u32_e64 v6, s[0:1], 0, v6, s[0:1]
	v_add_co_u32_e64 v7, s[0:1], s16, v7
	v_addc_co_u32_e64 v8, s[0:1], 0, v8, s[0:1]
	v_cmp_le_i32_e64 s[0:1], s3, v4
	s_or_b64 s[8:9], s[0:1], s[8:9]
	s_waitcnt vmcnt(0)
	v_add_f16_e32 v2, v16, v2
	global_store_short v[14:15], v2, off
	s_andn2_b64 exec, exec, s[8:9]
	s_cbranch_execnz .LBB9_5
	s_branch .LBB9_2
.LBB9_6:
	s_endpgm
	.section	.rodata,"a",@progbits
	.p2align	6, 0x0
	.amdhsa_kernel _ZN2at6native12_GLOBAL__N_120adaptivemaxgradinputIN3c104HalfEEEvPT_PKS5_PKliiii
		.amdhsa_group_segment_fixed_size 0
		.amdhsa_private_segment_fixed_size 0
		.amdhsa_kernarg_size 296
		.amdhsa_user_sgpr_count 6
		.amdhsa_user_sgpr_private_segment_buffer 1
		.amdhsa_user_sgpr_dispatch_ptr 0
		.amdhsa_user_sgpr_queue_ptr 0
		.amdhsa_user_sgpr_kernarg_segment_ptr 1
		.amdhsa_user_sgpr_dispatch_id 0
		.amdhsa_user_sgpr_flat_scratch_init 0
		.amdhsa_user_sgpr_private_segment_size 0
		.amdhsa_uses_dynamic_stack 0
		.amdhsa_system_sgpr_private_segment_wavefront_offset 0
		.amdhsa_system_sgpr_workgroup_id_x 1
		.amdhsa_system_sgpr_workgroup_id_y 1
		.amdhsa_system_sgpr_workgroup_id_z 0
		.amdhsa_system_sgpr_workgroup_info 0
		.amdhsa_system_vgpr_workitem_id 1
		.amdhsa_next_free_vgpr 18
		.amdhsa_next_free_sgpr 18
		.amdhsa_reserve_vcc 1
		.amdhsa_reserve_flat_scratch 0
		.amdhsa_float_round_mode_32 0
		.amdhsa_float_round_mode_16_64 0
		.amdhsa_float_denorm_mode_32 3
		.amdhsa_float_denorm_mode_16_64 3
		.amdhsa_dx10_clamp 1
		.amdhsa_ieee_mode 1
		.amdhsa_fp16_overflow 0
		.amdhsa_exception_fp_ieee_invalid_op 0
		.amdhsa_exception_fp_denorm_src 0
		.amdhsa_exception_fp_ieee_div_zero 0
		.amdhsa_exception_fp_ieee_overflow 0
		.amdhsa_exception_fp_ieee_underflow 0
		.amdhsa_exception_fp_ieee_inexact 0
		.amdhsa_exception_int_div_zero 0
	.end_amdhsa_kernel
	.section	.text._ZN2at6native12_GLOBAL__N_120adaptivemaxgradinputIN3c104HalfEEEvPT_PKS5_PKliiii,"axG",@progbits,_ZN2at6native12_GLOBAL__N_120adaptivemaxgradinputIN3c104HalfEEEvPT_PKS5_PKliiii,comdat
.Lfunc_end9:
	.size	_ZN2at6native12_GLOBAL__N_120adaptivemaxgradinputIN3c104HalfEEEvPT_PKS5_PKliiii, .Lfunc_end9-_ZN2at6native12_GLOBAL__N_120adaptivemaxgradinputIN3c104HalfEEEvPT_PKS5_PKliiii
                                        ; -- End function
	.set _ZN2at6native12_GLOBAL__N_120adaptivemaxgradinputIN3c104HalfEEEvPT_PKS5_PKliiii.num_vgpr, 18
	.set _ZN2at6native12_GLOBAL__N_120adaptivemaxgradinputIN3c104HalfEEEvPT_PKS5_PKliiii.num_agpr, 0
	.set _ZN2at6native12_GLOBAL__N_120adaptivemaxgradinputIN3c104HalfEEEvPT_PKS5_PKliiii.numbered_sgpr, 18
	.set _ZN2at6native12_GLOBAL__N_120adaptivemaxgradinputIN3c104HalfEEEvPT_PKS5_PKliiii.num_named_barrier, 0
	.set _ZN2at6native12_GLOBAL__N_120adaptivemaxgradinputIN3c104HalfEEEvPT_PKS5_PKliiii.private_seg_size, 0
	.set _ZN2at6native12_GLOBAL__N_120adaptivemaxgradinputIN3c104HalfEEEvPT_PKS5_PKliiii.uses_vcc, 1
	.set _ZN2at6native12_GLOBAL__N_120adaptivemaxgradinputIN3c104HalfEEEvPT_PKS5_PKliiii.uses_flat_scratch, 0
	.set _ZN2at6native12_GLOBAL__N_120adaptivemaxgradinputIN3c104HalfEEEvPT_PKS5_PKliiii.has_dyn_sized_stack, 0
	.set _ZN2at6native12_GLOBAL__N_120adaptivemaxgradinputIN3c104HalfEEEvPT_PKS5_PKliiii.has_recursion, 0
	.set _ZN2at6native12_GLOBAL__N_120adaptivemaxgradinputIN3c104HalfEEEvPT_PKS5_PKliiii.has_indirect_call, 0
	.section	.AMDGPU.csdata,"",@progbits
; Kernel info:
; codeLenInByte = 472
; TotalNumSgprs: 22
; NumVgprs: 18
; ScratchSize: 0
; MemoryBound: 0
; FloatMode: 240
; IeeeMode: 1
; LDSByteSize: 0 bytes/workgroup (compile time only)
; SGPRBlocks: 2
; VGPRBlocks: 4
; NumSGPRsForWavesPerEU: 22
; NumVGPRsForWavesPerEU: 18
; Occupancy: 10
; WaveLimiterHint : 1
; COMPUTE_PGM_RSRC2:SCRATCH_EN: 0
; COMPUTE_PGM_RSRC2:USER_SGPR: 6
; COMPUTE_PGM_RSRC2:TRAP_HANDLER: 0
; COMPUTE_PGM_RSRC2:TGID_X_EN: 1
; COMPUTE_PGM_RSRC2:TGID_Y_EN: 1
; COMPUTE_PGM_RSRC2:TGID_Z_EN: 0
; COMPUTE_PGM_RSRC2:TIDIG_COMP_CNT: 1
	.section	.text._ZN2at6native12_GLOBAL__N_126atomicadaptivemaxgradinputIN3c108BFloat16EEEvPT_PKS5_PKliiii,"axG",@progbits,_ZN2at6native12_GLOBAL__N_126atomicadaptivemaxgradinputIN3c108BFloat16EEEvPT_PKS5_PKliiii,comdat
	.globl	_ZN2at6native12_GLOBAL__N_126atomicadaptivemaxgradinputIN3c108BFloat16EEEvPT_PKS5_PKliiii ; -- Begin function _ZN2at6native12_GLOBAL__N_126atomicadaptivemaxgradinputIN3c108BFloat16EEEvPT_PKS5_PKliiii
	.p2align	8
	.type	_ZN2at6native12_GLOBAL__N_126atomicadaptivemaxgradinputIN3c108BFloat16EEEvPT_PKS5_PKliiii,@function
_ZN2at6native12_GLOBAL__N_126atomicadaptivemaxgradinputIN3c108BFloat16EEEvPT_PKS5_PKliiii: ; @_ZN2at6native12_GLOBAL__N_126atomicadaptivemaxgradinputIN3c108BFloat16EEEvPT_PKS5_PKliiii
; %bb.0:
	s_load_dword s2, s[4:5], 0x34
	s_load_dwordx4 s[8:11], s[4:5], 0x18
	s_add_u32 s0, s4, 40
	s_addc_u32 s1, s5, 0
	s_waitcnt lgkmcnt(0)
	s_lshr_b32 s3, s2, 16
	s_mul_i32 s7, s7, s3
	v_add_u32_e32 v7, s7, v1
	v_cmp_gt_i32_e32 vcc, s10, v7
	s_and_saveexec_b64 s[12:13], vcc
	s_cbranch_execz .LBB10_8
; %bb.1:
	s_load_dword s15, s[0:1], 0x4
	s_load_dwordx4 s[20:23], s[4:5], 0x0
	s_load_dwordx2 s[12:13], s[4:5], 0x10
	s_mul_i32 s0, s10, s6
	s_mul_i32 s0, s0, s11
	s_ashr_i32 s1, s0, 31
	s_and_b32 s14, s2, 0xffff
	s_waitcnt lgkmcnt(0)
	s_mul_i32 s15, s15, s3
	s_lshl_b64 s[2:3], s[0:1], 1
	s_add_u32 s16, s22, s2
	s_mul_i32 s2, s8, s6
	s_mul_i32 s2, s2, s9
	s_addc_u32 s17, s23, s3
	s_ashr_i32 s3, s2, 31
	s_lshl_b64 s[2:3], s[2:3], 1
	s_add_u32 s18, s20, s2
	s_addc_u32 s2, s21, s3
	s_lshl_b64 s[0:1], s[0:1], 3
	s_add_u32 s19, s12, s0
	s_addc_u32 s20, s13, s1
	v_cmp_gt_i32_e64 s[0:1], s11, v0
	s_mov_b64 s[4:5], 0
	v_mov_b32_e32 v2, 0
	v_mov_b32_e32 v8, s2
	s_movk_i32 s21, 0x7fff
	s_mov_b32 s22, 0xffff0000
	v_mov_b32_e32 v9, 0x7fc0
	s_branch .LBB10_3
.LBB10_2:                               ;   in Loop: Header=BB10_3 Depth=1
	s_or_b64 exec, exec, s[6:7]
	v_add_u32_e32 v7, s15, v7
	v_cmp_le_i32_e32 vcc, s10, v7
	s_or_b64 s[4:5], vcc, s[4:5]
	s_andn2_b64 exec, exec, s[4:5]
	s_cbranch_execz .LBB10_8
.LBB10_3:                               ; =>This Loop Header: Depth=1
                                        ;     Child Loop BB10_5 Depth 2
                                        ;       Child Loop BB10_6 Depth 3
	s_and_saveexec_b64 s[6:7], s[0:1]
	s_cbranch_execz .LBB10_2
; %bb.4:                                ;   in Loop: Header=BB10_3 Depth=1
	v_mul_lo_u32 v3, v7, s11
	v_mov_b32_e32 v1, s17
	s_mov_b64 s[8:9], 0
	v_ashrrev_i32_e32 v4, 31, v3
	v_lshlrev_b64 v[5:6], 1, v[3:4]
	v_lshlrev_b64 v[3:4], 3, v[3:4]
	v_add_co_u32_e32 v10, vcc, s16, v5
	v_addc_co_u32_e32 v11, vcc, v1, v6, vcc
	v_mov_b32_e32 v1, s20
	v_add_co_u32_e32 v12, vcc, s19, v3
	v_addc_co_u32_e32 v13, vcc, v1, v4, vcc
	v_mov_b32_e32 v1, v0
.LBB10_5:                               ;   Parent Loop BB10_3 Depth=1
                                        ; =>  This Loop Header: Depth=2
                                        ;       Child Loop BB10_6 Depth 3
	v_lshlrev_b64 v[3:4], 3, v[1:2]
	v_lshlrev_b64 v[5:6], 1, v[1:2]
	v_add_co_u32_e32 v3, vcc, v12, v3
	v_addc_co_u32_e32 v4, vcc, v13, v4, vcc
	global_load_dword v4, v[3:4], off
	v_mov_b32_e32 v3, v2
	v_add_co_u32_e32 v5, vcc, v10, v5
	v_addc_co_u32_e32 v6, vcc, v11, v6, vcc
	global_load_ushort v5, v[5:6], off
	s_mov_b64 s[12:13], 0
	s_waitcnt vmcnt(1)
	v_ashrrev_i64 v[3:4], 31, v[3:4]
	v_add_co_u32_e32 v3, vcc, s18, v3
	v_addc_co_u32_e32 v4, vcc, v8, v4, vcc
	v_and_b32_e32 v14, 2, v3
	v_sub_co_u32_e32 v6, vcc, 0, v14
	v_subb_co_u32_e64 v15, s[2:3], 0, 0, vcc
	v_add_co_u32_e32 v3, vcc, v3, v6
	v_addc_co_u32_e32 v4, vcc, v4, v15, vcc
	global_load_dword v6, v[3:4], off
	v_mov_b32_e32 v15, v2
	v_cmp_eq_u64_e64 s[2:3], 0, v[14:15]
	s_waitcnt vmcnt(1)
	v_lshlrev_b32_e32 v14, 16, v5
.LBB10_6:                               ;   Parent Loop BB10_3 Depth=1
                                        ;     Parent Loop BB10_5 Depth=2
                                        ; =>    This Inner Loop Header: Depth=3
	s_mov_b64 vcc, s[2:3]
	s_waitcnt vmcnt(0)
	v_and_b32_e32 v5, 0xffff, v6
	v_cndmask_b32_sdwa v15, v6, v5, vcc dst_sel:WORD_1 dst_unused:UNUSED_PAD src0_sel:WORD_1 src1_sel:DWORD
	v_add_f32_e32 v15, v14, v15
	v_bfe_u32 v16, v15, 16, 1
	v_cmp_o_f32_e32 vcc, v15, v15
	v_add3_u32 v15, v15, v16, s21
	v_cndmask_b32_sdwa v15, v9, v15, vcc dst_sel:DWORD dst_unused:UNUSED_PAD src0_sel:DWORD src1_sel:WORD_1
	v_lshl_or_b32 v5, v15, 16, v5
	v_and_or_b32 v15, v6, s22, v15
	v_cndmask_b32_e64 v5, v5, v15, s[2:3]
	global_atomic_cmpswap v5, v[3:4], v[5:6], off glc
	s_waitcnt vmcnt(0)
	v_cmp_eq_u32_e32 vcc, v6, v5
	s_or_b64 s[12:13], vcc, s[12:13]
	v_mov_b32_e32 v6, v5
	s_andn2_b64 exec, exec, s[12:13]
	s_cbranch_execnz .LBB10_6
; %bb.7:                                ;   in Loop: Header=BB10_5 Depth=2
	s_or_b64 exec, exec, s[12:13]
	v_add_u32_e32 v1, s14, v1
	v_cmp_le_i32_e32 vcc, s11, v1
	s_or_b64 s[8:9], vcc, s[8:9]
	s_andn2_b64 exec, exec, s[8:9]
	s_cbranch_execnz .LBB10_5
	s_branch .LBB10_2
.LBB10_8:
	s_endpgm
	.section	.rodata,"a",@progbits
	.p2align	6, 0x0
	.amdhsa_kernel _ZN2at6native12_GLOBAL__N_126atomicadaptivemaxgradinputIN3c108BFloat16EEEvPT_PKS5_PKliiii
		.amdhsa_group_segment_fixed_size 0
		.amdhsa_private_segment_fixed_size 0
		.amdhsa_kernarg_size 296
		.amdhsa_user_sgpr_count 6
		.amdhsa_user_sgpr_private_segment_buffer 1
		.amdhsa_user_sgpr_dispatch_ptr 0
		.amdhsa_user_sgpr_queue_ptr 0
		.amdhsa_user_sgpr_kernarg_segment_ptr 1
		.amdhsa_user_sgpr_dispatch_id 0
		.amdhsa_user_sgpr_flat_scratch_init 0
		.amdhsa_user_sgpr_private_segment_size 0
		.amdhsa_uses_dynamic_stack 0
		.amdhsa_system_sgpr_private_segment_wavefront_offset 0
		.amdhsa_system_sgpr_workgroup_id_x 1
		.amdhsa_system_sgpr_workgroup_id_y 1
		.amdhsa_system_sgpr_workgroup_id_z 0
		.amdhsa_system_sgpr_workgroup_info 0
		.amdhsa_system_vgpr_workitem_id 1
		.amdhsa_next_free_vgpr 17
		.amdhsa_next_free_sgpr 24
		.amdhsa_reserve_vcc 1
		.amdhsa_reserve_flat_scratch 0
		.amdhsa_float_round_mode_32 0
		.amdhsa_float_round_mode_16_64 0
		.amdhsa_float_denorm_mode_32 3
		.amdhsa_float_denorm_mode_16_64 3
		.amdhsa_dx10_clamp 1
		.amdhsa_ieee_mode 1
		.amdhsa_fp16_overflow 0
		.amdhsa_exception_fp_ieee_invalid_op 0
		.amdhsa_exception_fp_denorm_src 0
		.amdhsa_exception_fp_ieee_div_zero 0
		.amdhsa_exception_fp_ieee_overflow 0
		.amdhsa_exception_fp_ieee_underflow 0
		.amdhsa_exception_fp_ieee_inexact 0
		.amdhsa_exception_int_div_zero 0
	.end_amdhsa_kernel
	.section	.text._ZN2at6native12_GLOBAL__N_126atomicadaptivemaxgradinputIN3c108BFloat16EEEvPT_PKS5_PKliiii,"axG",@progbits,_ZN2at6native12_GLOBAL__N_126atomicadaptivemaxgradinputIN3c108BFloat16EEEvPT_PKS5_PKliiii,comdat
.Lfunc_end10:
	.size	_ZN2at6native12_GLOBAL__N_126atomicadaptivemaxgradinputIN3c108BFloat16EEEvPT_PKS5_PKliiii, .Lfunc_end10-_ZN2at6native12_GLOBAL__N_126atomicadaptivemaxgradinputIN3c108BFloat16EEEvPT_PKS5_PKliiii
                                        ; -- End function
	.set _ZN2at6native12_GLOBAL__N_126atomicadaptivemaxgradinputIN3c108BFloat16EEEvPT_PKS5_PKliiii.num_vgpr, 17
	.set _ZN2at6native12_GLOBAL__N_126atomicadaptivemaxgradinputIN3c108BFloat16EEEvPT_PKS5_PKliiii.num_agpr, 0
	.set _ZN2at6native12_GLOBAL__N_126atomicadaptivemaxgradinputIN3c108BFloat16EEEvPT_PKS5_PKliiii.numbered_sgpr, 24
	.set _ZN2at6native12_GLOBAL__N_126atomicadaptivemaxgradinputIN3c108BFloat16EEEvPT_PKS5_PKliiii.num_named_barrier, 0
	.set _ZN2at6native12_GLOBAL__N_126atomicadaptivemaxgradinputIN3c108BFloat16EEEvPT_PKS5_PKliiii.private_seg_size, 0
	.set _ZN2at6native12_GLOBAL__N_126atomicadaptivemaxgradinputIN3c108BFloat16EEEvPT_PKS5_PKliiii.uses_vcc, 1
	.set _ZN2at6native12_GLOBAL__N_126atomicadaptivemaxgradinputIN3c108BFloat16EEEvPT_PKS5_PKliiii.uses_flat_scratch, 0
	.set _ZN2at6native12_GLOBAL__N_126atomicadaptivemaxgradinputIN3c108BFloat16EEEvPT_PKS5_PKliiii.has_dyn_sized_stack, 0
	.set _ZN2at6native12_GLOBAL__N_126atomicadaptivemaxgradinputIN3c108BFloat16EEEvPT_PKS5_PKliiii.has_recursion, 0
	.set _ZN2at6native12_GLOBAL__N_126atomicadaptivemaxgradinputIN3c108BFloat16EEEvPT_PKS5_PKliiii.has_indirect_call, 0
	.section	.AMDGPU.csdata,"",@progbits
; Kernel info:
; codeLenInByte = 560
; TotalNumSgprs: 28
; NumVgprs: 17
; ScratchSize: 0
; MemoryBound: 0
; FloatMode: 240
; IeeeMode: 1
; LDSByteSize: 0 bytes/workgroup (compile time only)
; SGPRBlocks: 3
; VGPRBlocks: 4
; NumSGPRsForWavesPerEU: 28
; NumVGPRsForWavesPerEU: 17
; Occupancy: 10
; WaveLimiterHint : 1
; COMPUTE_PGM_RSRC2:SCRATCH_EN: 0
; COMPUTE_PGM_RSRC2:USER_SGPR: 6
; COMPUTE_PGM_RSRC2:TRAP_HANDLER: 0
; COMPUTE_PGM_RSRC2:TGID_X_EN: 1
; COMPUTE_PGM_RSRC2:TGID_Y_EN: 1
; COMPUTE_PGM_RSRC2:TGID_Z_EN: 0
; COMPUTE_PGM_RSRC2:TIDIG_COMP_CNT: 1
	.section	.text._ZN2at6native12_GLOBAL__N_120adaptivemaxgradinputIN3c108BFloat16EEEvPT_PKS5_PKliiii,"axG",@progbits,_ZN2at6native12_GLOBAL__N_120adaptivemaxgradinputIN3c108BFloat16EEEvPT_PKS5_PKliiii,comdat
	.globl	_ZN2at6native12_GLOBAL__N_120adaptivemaxgradinputIN3c108BFloat16EEEvPT_PKS5_PKliiii ; -- Begin function _ZN2at6native12_GLOBAL__N_120adaptivemaxgradinputIN3c108BFloat16EEEvPT_PKS5_PKliiii
	.p2align	8
	.type	_ZN2at6native12_GLOBAL__N_120adaptivemaxgradinputIN3c108BFloat16EEEvPT_PKS5_PKliiii,@function
_ZN2at6native12_GLOBAL__N_120adaptivemaxgradinputIN3c108BFloat16EEEvPT_PKS5_PKliiii: ; @_ZN2at6native12_GLOBAL__N_120adaptivemaxgradinputIN3c108BFloat16EEEvPT_PKS5_PKliiii
; %bb.0:
	s_load_dword s10, s[4:5], 0x34
	s_load_dwordx4 s[0:3], s[4:5], 0x18
	s_add_u32 s8, s4, 40
	s_addc_u32 s9, s5, 0
	s_waitcnt lgkmcnt(0)
	s_lshr_b32 s11, s10, 16
	s_mul_i32 s7, s7, s11
	v_add_u32_e32 v9, s7, v1
	v_cmp_gt_i32_e32 vcc, s2, v9
	s_and_saveexec_b64 s[12:13], vcc
	s_cbranch_execz .LBB11_6
; %bb.1:
	s_load_dword s7, s[8:9], 0x4
	s_load_dwordx4 s[12:15], s[4:5], 0x0
	s_load_dwordx2 s[16:17], s[4:5], 0x10
	s_mul_i32 s0, s0, s6
	s_mul_i32 s4, s2, s6
	;; [unrolled: 1-line block ×4, first 2 shown]
	s_ashr_i32 s1, s0, 31
	s_and_b32 s10, s10, 0xffff
	s_ashr_i32 s5, s4, 31
	s_lshl_b64 s[0:1], s[0:1], 1
	s_waitcnt lgkmcnt(0)
	s_add_u32 s12, s12, s0
	s_addc_u32 s13, s13, s1
	s_lshl_b64 s[0:1], s[4:5], 1
	s_add_u32 s0, s14, s0
	v_lshlrev_b32_e32 v2, 1, v0
	s_addc_u32 s1, s15, s1
	v_mov_b32_e32 v3, s1
	v_add_co_u32_e64 v10, s[0:1], s0, v2
	v_addc_co_u32_e64 v11, s[0:1], 0, v3, s[0:1]
	s_lshl_b32 s15, s10, 1
	s_lshl_b64 s[0:1], s[4:5], 3
	v_mul_lo_u32 v3, s3, v9
	s_add_u32 s0, s16, s0
	v_lshlrev_b32_e32 v2, 3, v0
	s_addc_u32 s1, s17, s1
	s_mul_i32 s11, s7, s11
	v_mov_b32_e32 v4, s1
	v_add_co_u32_e64 v12, s[0:1], s0, v2
	v_cmp_gt_i32_e32 vcc, s3, v0
	v_mov_b32_e32 v1, 0
	s_mul_i32 s14, s11, s3
	v_addc_co_u32_e64 v13, s[0:1], 0, v4, s[0:1]
	s_lshl_b32 s16, s10, 3
	s_mov_b64 s[4:5], 0
	s_movk_i32 s17, 0x7fff
	v_mov_b32_e32 v14, 0x7fc0
	s_branch .LBB11_3
.LBB11_2:                               ;   in Loop: Header=BB11_3 Depth=1
	s_or_b64 exec, exec, s[6:7]
	v_add_u32_e32 v9, s11, v9
	v_cmp_le_i32_e64 s[0:1], s2, v9
	s_or_b64 s[4:5], s[0:1], s[4:5]
	v_add_u32_e32 v3, s14, v3
	s_andn2_b64 exec, exec, s[4:5]
	s_cbranch_execz .LBB11_6
.LBB11_3:                               ; =>This Loop Header: Depth=1
                                        ;     Child Loop BB11_5 Depth 2
	s_and_saveexec_b64 s[6:7], vcc
	s_cbranch_execz .LBB11_2
; %bb.4:                                ;   in Loop: Header=BB11_3 Depth=1
	v_ashrrev_i32_e32 v4, 31, v3
	v_lshlrev_b64 v[5:6], 1, v[3:4]
	v_lshlrev_b64 v[7:8], 3, v[3:4]
	v_add_co_u32_e64 v5, s[0:1], v10, v5
	v_addc_co_u32_e64 v6, s[0:1], v11, v6, s[0:1]
	v_add_co_u32_e64 v7, s[0:1], v12, v7
	v_addc_co_u32_e64 v8, s[0:1], v13, v8, s[0:1]
	s_mov_b64 s[8:9], 0
	v_mov_b32_e32 v4, v0
.LBB11_5:                               ;   Parent Loop BB11_3 Depth=1
                                        ; =>  This Inner Loop Header: Depth=2
	global_load_dword v2, v[7:8], off
	v_mov_b32_e32 v17, s13
	global_load_ushort v18, v[5:6], off
	v_add_u32_e32 v4, s10, v4
	s_waitcnt vmcnt(1)
	v_ashrrev_i64 v[15:16], 31, v[1:2]
	v_add_co_u32_e64 v15, s[0:1], s12, v15
	v_addc_co_u32_e64 v16, s[0:1], v17, v16, s[0:1]
	global_load_ushort v2, v[15:16], off
	v_add_co_u32_e64 v5, s[0:1], s15, v5
	v_addc_co_u32_e64 v6, s[0:1], 0, v6, s[0:1]
	s_waitcnt vmcnt(1)
	v_lshlrev_b32_e32 v17, 16, v18
	v_add_co_u32_e64 v7, s[0:1], s16, v7
	v_addc_co_u32_e64 v8, s[0:1], 0, v8, s[0:1]
	v_cmp_le_i32_e64 s[0:1], s3, v4
	s_or_b64 s[8:9], s[0:1], s[8:9]
	s_waitcnt vmcnt(0)
	v_lshlrev_b32_e32 v2, 16, v2
	v_add_f32_e32 v2, v17, v2
	v_bfe_u32 v17, v2, 16, 1
	v_add3_u32 v17, v2, v17, s17
	v_lshrrev_b32_e32 v17, 16, v17
	v_cmp_o_f32_e64 s[0:1], v2, v2
	v_cndmask_b32_e64 v2, v14, v17, s[0:1]
	global_store_short v[15:16], v2, off
	s_andn2_b64 exec, exec, s[8:9]
	s_cbranch_execnz .LBB11_5
	s_branch .LBB11_2
.LBB11_6:
	s_endpgm
	.section	.rodata,"a",@progbits
	.p2align	6, 0x0
	.amdhsa_kernel _ZN2at6native12_GLOBAL__N_120adaptivemaxgradinputIN3c108BFloat16EEEvPT_PKS5_PKliiii
		.amdhsa_group_segment_fixed_size 0
		.amdhsa_private_segment_fixed_size 0
		.amdhsa_kernarg_size 296
		.amdhsa_user_sgpr_count 6
		.amdhsa_user_sgpr_private_segment_buffer 1
		.amdhsa_user_sgpr_dispatch_ptr 0
		.amdhsa_user_sgpr_queue_ptr 0
		.amdhsa_user_sgpr_kernarg_segment_ptr 1
		.amdhsa_user_sgpr_dispatch_id 0
		.amdhsa_user_sgpr_flat_scratch_init 0
		.amdhsa_user_sgpr_private_segment_size 0
		.amdhsa_uses_dynamic_stack 0
		.amdhsa_system_sgpr_private_segment_wavefront_offset 0
		.amdhsa_system_sgpr_workgroup_id_x 1
		.amdhsa_system_sgpr_workgroup_id_y 1
		.amdhsa_system_sgpr_workgroup_id_z 0
		.amdhsa_system_sgpr_workgroup_info 0
		.amdhsa_system_vgpr_workitem_id 1
		.amdhsa_next_free_vgpr 19
		.amdhsa_next_free_sgpr 18
		.amdhsa_reserve_vcc 1
		.amdhsa_reserve_flat_scratch 0
		.amdhsa_float_round_mode_32 0
		.amdhsa_float_round_mode_16_64 0
		.amdhsa_float_denorm_mode_32 3
		.amdhsa_float_denorm_mode_16_64 3
		.amdhsa_dx10_clamp 1
		.amdhsa_ieee_mode 1
		.amdhsa_fp16_overflow 0
		.amdhsa_exception_fp_ieee_invalid_op 0
		.amdhsa_exception_fp_denorm_src 0
		.amdhsa_exception_fp_ieee_div_zero 0
		.amdhsa_exception_fp_ieee_overflow 0
		.amdhsa_exception_fp_ieee_underflow 0
		.amdhsa_exception_fp_ieee_inexact 0
		.amdhsa_exception_int_div_zero 0
	.end_amdhsa_kernel
	.section	.text._ZN2at6native12_GLOBAL__N_120adaptivemaxgradinputIN3c108BFloat16EEEvPT_PKS5_PKliiii,"axG",@progbits,_ZN2at6native12_GLOBAL__N_120adaptivemaxgradinputIN3c108BFloat16EEEvPT_PKS5_PKliiii,comdat
.Lfunc_end11:
	.size	_ZN2at6native12_GLOBAL__N_120adaptivemaxgradinputIN3c108BFloat16EEEvPT_PKS5_PKliiii, .Lfunc_end11-_ZN2at6native12_GLOBAL__N_120adaptivemaxgradinputIN3c108BFloat16EEEvPT_PKS5_PKliiii
                                        ; -- End function
	.set _ZN2at6native12_GLOBAL__N_120adaptivemaxgradinputIN3c108BFloat16EEEvPT_PKS5_PKliiii.num_vgpr, 19
	.set _ZN2at6native12_GLOBAL__N_120adaptivemaxgradinputIN3c108BFloat16EEEvPT_PKS5_PKliiii.num_agpr, 0
	.set _ZN2at6native12_GLOBAL__N_120adaptivemaxgradinputIN3c108BFloat16EEEvPT_PKS5_PKliiii.numbered_sgpr, 18
	.set _ZN2at6native12_GLOBAL__N_120adaptivemaxgradinputIN3c108BFloat16EEEvPT_PKS5_PKliiii.num_named_barrier, 0
	.set _ZN2at6native12_GLOBAL__N_120adaptivemaxgradinputIN3c108BFloat16EEEvPT_PKS5_PKliiii.private_seg_size, 0
	.set _ZN2at6native12_GLOBAL__N_120adaptivemaxgradinputIN3c108BFloat16EEEvPT_PKS5_PKliiii.uses_vcc, 1
	.set _ZN2at6native12_GLOBAL__N_120adaptivemaxgradinputIN3c108BFloat16EEEvPT_PKS5_PKliiii.uses_flat_scratch, 0
	.set _ZN2at6native12_GLOBAL__N_120adaptivemaxgradinputIN3c108BFloat16EEEvPT_PKS5_PKliiii.has_dyn_sized_stack, 0
	.set _ZN2at6native12_GLOBAL__N_120adaptivemaxgradinputIN3c108BFloat16EEEvPT_PKS5_PKliiii.has_recursion, 0
	.set _ZN2at6native12_GLOBAL__N_120adaptivemaxgradinputIN3c108BFloat16EEEvPT_PKS5_PKliiii.has_indirect_call, 0
	.section	.AMDGPU.csdata,"",@progbits
; Kernel info:
; codeLenInByte = 532
; TotalNumSgprs: 22
; NumVgprs: 19
; ScratchSize: 0
; MemoryBound: 0
; FloatMode: 240
; IeeeMode: 1
; LDSByteSize: 0 bytes/workgroup (compile time only)
; SGPRBlocks: 2
; VGPRBlocks: 4
; NumSGPRsForWavesPerEU: 22
; NumVGPRsForWavesPerEU: 19
; Occupancy: 10
; WaveLimiterHint : 1
; COMPUTE_PGM_RSRC2:SCRATCH_EN: 0
; COMPUTE_PGM_RSRC2:USER_SGPR: 6
; COMPUTE_PGM_RSRC2:TRAP_HANDLER: 0
; COMPUTE_PGM_RSRC2:TGID_X_EN: 1
; COMPUTE_PGM_RSRC2:TGID_Y_EN: 1
; COMPUTE_PGM_RSRC2:TGID_Z_EN: 0
; COMPUTE_PGM_RSRC2:TIDIG_COMP_CNT: 1
	.section	.AMDGPU.gpr_maximums,"",@progbits
	.set amdgpu.max_num_vgpr, 0
	.set amdgpu.max_num_agpr, 0
	.set amdgpu.max_num_sgpr, 0
	.section	.AMDGPU.csdata,"",@progbits
	.type	__hip_cuid_7733e134291f6643,@object ; @__hip_cuid_7733e134291f6643
	.section	.bss,"aw",@nobits
	.globl	__hip_cuid_7733e134291f6643
__hip_cuid_7733e134291f6643:
	.byte	0                               ; 0x0
	.size	__hip_cuid_7733e134291f6643, 1

	.ident	"AMD clang version 22.0.0git (https://github.com/RadeonOpenCompute/llvm-project roc-7.2.4 26084 f58b06dce1f9c15707c5f808fd002e18c2accf7e)"
	.section	".note.GNU-stack","",@progbits
	.addrsig
	.addrsig_sym __hip_cuid_7733e134291f6643
	.amdgpu_metadata
---
amdhsa.kernels:
  - .args:
      - .address_space:  global
        .offset:         0
        .size:           8
        .value_kind:     global_buffer
      - .address_space:  global
        .offset:         8
        .size:           8
        .value_kind:     global_buffer
      - .address_space:  global
        .offset:         16
        .size:           8
        .value_kind:     global_buffer
      - .offset:         24
        .size:           4
        .value_kind:     by_value
      - .offset:         28
        .size:           4
        .value_kind:     by_value
      - .offset:         32
        .size:           4
        .value_kind:     by_value
      - .offset:         36
        .size:           4
        .value_kind:     by_value
      - .offset:         40
        .size:           8
        .value_kind:     by_value
      - .offset:         48
        .size:           8
        .value_kind:     by_value
      - .offset:         56
        .size:           8
        .value_kind:     by_value
      - .offset:         64
        .size:           4
        .value_kind:     hidden_block_count_x
      - .offset:         68
        .size:           4
        .value_kind:     hidden_block_count_y
      - .offset:         72
        .size:           4
        .value_kind:     hidden_block_count_z
      - .offset:         76
        .size:           2
        .value_kind:     hidden_group_size_x
      - .offset:         78
        .size:           2
        .value_kind:     hidden_group_size_y
      - .offset:         80
        .size:           2
        .value_kind:     hidden_group_size_z
      - .offset:         82
        .size:           2
        .value_kind:     hidden_remainder_x
      - .offset:         84
        .size:           2
        .value_kind:     hidden_remainder_y
      - .offset:         86
        .size:           2
        .value_kind:     hidden_remainder_z
      - .offset:         104
        .size:           8
        .value_kind:     hidden_global_offset_x
      - .offset:         112
        .size:           8
        .value_kind:     hidden_global_offset_y
      - .offset:         120
        .size:           8
        .value_kind:     hidden_global_offset_z
      - .offset:         128
        .size:           2
        .value_kind:     hidden_grid_dims
    .group_segment_fixed_size: 0
    .kernarg_segment_align: 8
    .kernarg_segment_size: 320
    .language:       OpenCL C
    .language_version:
      - 2
      - 0
    .max_flat_workgroup_size: 1024
    .name:           _ZN2at6native12_GLOBAL__N_115adaptivemaxpoolIdEEvPKT_PS3_Pliiiilll
    .private_segment_fixed_size: 0
    .sgpr_count:     59
    .sgpr_spill_count: 0
    .symbol:         _ZN2at6native12_GLOBAL__N_115adaptivemaxpoolIdEEvPKT_PS3_Pliiiilll.kd
    .uniform_work_group_size: 1
    .uses_dynamic_stack: false
    .vgpr_count:     28
    .vgpr_spill_count: 0
    .wavefront_size: 64
  - .args:
      - .address_space:  global
        .offset:         0
        .size:           8
        .value_kind:     global_buffer
      - .address_space:  global
        .offset:         8
        .size:           8
        .value_kind:     global_buffer
      - .address_space:  global
        .offset:         16
        .size:           8
        .value_kind:     global_buffer
      - .offset:         24
        .size:           4
        .value_kind:     by_value
      - .offset:         28
        .size:           4
        .value_kind:     by_value
      - .offset:         32
        .size:           4
        .value_kind:     by_value
      - .offset:         36
        .size:           4
        .value_kind:     by_value
      - .offset:         40
        .size:           8
        .value_kind:     by_value
      - .offset:         48
        .size:           8
        .value_kind:     by_value
      - .offset:         56
        .size:           8
        .value_kind:     by_value
      - .offset:         64
        .size:           4
        .value_kind:     hidden_block_count_x
      - .offset:         68
        .size:           4
        .value_kind:     hidden_block_count_y
      - .offset:         72
        .size:           4
        .value_kind:     hidden_block_count_z
      - .offset:         76
        .size:           2
        .value_kind:     hidden_group_size_x
      - .offset:         78
        .size:           2
        .value_kind:     hidden_group_size_y
      - .offset:         80
        .size:           2
        .value_kind:     hidden_group_size_z
      - .offset:         82
        .size:           2
        .value_kind:     hidden_remainder_x
      - .offset:         84
        .size:           2
        .value_kind:     hidden_remainder_y
      - .offset:         86
        .size:           2
        .value_kind:     hidden_remainder_z
      - .offset:         104
        .size:           8
        .value_kind:     hidden_global_offset_x
      - .offset:         112
        .size:           8
        .value_kind:     hidden_global_offset_y
      - .offset:         120
        .size:           8
        .value_kind:     hidden_global_offset_z
      - .offset:         128
        .size:           2
        .value_kind:     hidden_grid_dims
    .group_segment_fixed_size: 0
    .kernarg_segment_align: 8
    .kernarg_segment_size: 320
    .language:       OpenCL C
    .language_version:
      - 2
      - 0
    .max_flat_workgroup_size: 1024
    .name:           _ZN2at6native12_GLOBAL__N_115adaptivemaxpoolIfEEvPKT_PS3_Pliiiilll
    .private_segment_fixed_size: 0
    .sgpr_count:     59
    .sgpr_spill_count: 0
    .symbol:         _ZN2at6native12_GLOBAL__N_115adaptivemaxpoolIfEEvPKT_PS3_Pliiiilll.kd
    .uniform_work_group_size: 1
    .uses_dynamic_stack: false
    .vgpr_count:     28
    .vgpr_spill_count: 0
    .wavefront_size: 64
  - .args:
      - .address_space:  global
        .offset:         0
        .size:           8
        .value_kind:     global_buffer
      - .address_space:  global
        .offset:         8
        .size:           8
        .value_kind:     global_buffer
      - .address_space:  global
        .offset:         16
        .size:           8
        .value_kind:     global_buffer
      - .offset:         24
        .size:           4
        .value_kind:     by_value
      - .offset:         28
        .size:           4
        .value_kind:     by_value
      - .offset:         32
        .size:           4
        .value_kind:     by_value
      - .offset:         36
        .size:           4
        .value_kind:     by_value
      - .offset:         40
        .size:           8
        .value_kind:     by_value
      - .offset:         48
        .size:           8
        .value_kind:     by_value
      - .offset:         56
        .size:           8
        .value_kind:     by_value
      - .offset:         64
        .size:           4
        .value_kind:     hidden_block_count_x
      - .offset:         68
        .size:           4
        .value_kind:     hidden_block_count_y
      - .offset:         72
        .size:           4
        .value_kind:     hidden_block_count_z
      - .offset:         76
        .size:           2
        .value_kind:     hidden_group_size_x
      - .offset:         78
        .size:           2
        .value_kind:     hidden_group_size_y
      - .offset:         80
        .size:           2
        .value_kind:     hidden_group_size_z
      - .offset:         82
        .size:           2
        .value_kind:     hidden_remainder_x
      - .offset:         84
        .size:           2
        .value_kind:     hidden_remainder_y
      - .offset:         86
        .size:           2
        .value_kind:     hidden_remainder_z
      - .offset:         104
        .size:           8
        .value_kind:     hidden_global_offset_x
      - .offset:         112
        .size:           8
        .value_kind:     hidden_global_offset_y
      - .offset:         120
        .size:           8
        .value_kind:     hidden_global_offset_z
      - .offset:         128
        .size:           2
        .value_kind:     hidden_grid_dims
    .group_segment_fixed_size: 0
    .kernarg_segment_align: 8
    .kernarg_segment_size: 320
    .language:       OpenCL C
    .language_version:
      - 2
      - 0
    .max_flat_workgroup_size: 1024
    .name:           _ZN2at6native12_GLOBAL__N_115adaptivemaxpoolIN3c104HalfEEEvPKT_PS5_Pliiiilll
    .private_segment_fixed_size: 0
    .sgpr_count:     59
    .sgpr_spill_count: 0
    .symbol:         _ZN2at6native12_GLOBAL__N_115adaptivemaxpoolIN3c104HalfEEEvPKT_PS5_Pliiiilll.kd
    .uniform_work_group_size: 1
    .uses_dynamic_stack: false
    .vgpr_count:     28
    .vgpr_spill_count: 0
    .wavefront_size: 64
  - .args:
      - .address_space:  global
        .offset:         0
        .size:           8
        .value_kind:     global_buffer
      - .address_space:  global
        .offset:         8
        .size:           8
        .value_kind:     global_buffer
      - .address_space:  global
        .offset:         16
        .size:           8
        .value_kind:     global_buffer
      - .offset:         24
        .size:           4
        .value_kind:     by_value
      - .offset:         28
        .size:           4
        .value_kind:     by_value
      - .offset:         32
        .size:           4
        .value_kind:     by_value
      - .offset:         36
        .size:           4
        .value_kind:     by_value
      - .offset:         40
        .size:           8
        .value_kind:     by_value
      - .offset:         48
        .size:           8
        .value_kind:     by_value
      - .offset:         56
        .size:           8
        .value_kind:     by_value
      - .offset:         64
        .size:           4
        .value_kind:     hidden_block_count_x
      - .offset:         68
        .size:           4
        .value_kind:     hidden_block_count_y
      - .offset:         72
        .size:           4
        .value_kind:     hidden_block_count_z
      - .offset:         76
        .size:           2
        .value_kind:     hidden_group_size_x
      - .offset:         78
        .size:           2
        .value_kind:     hidden_group_size_y
      - .offset:         80
        .size:           2
        .value_kind:     hidden_group_size_z
      - .offset:         82
        .size:           2
        .value_kind:     hidden_remainder_x
      - .offset:         84
        .size:           2
        .value_kind:     hidden_remainder_y
      - .offset:         86
        .size:           2
        .value_kind:     hidden_remainder_z
      - .offset:         104
        .size:           8
        .value_kind:     hidden_global_offset_x
      - .offset:         112
        .size:           8
        .value_kind:     hidden_global_offset_y
      - .offset:         120
        .size:           8
        .value_kind:     hidden_global_offset_z
      - .offset:         128
        .size:           2
        .value_kind:     hidden_grid_dims
    .group_segment_fixed_size: 0
    .kernarg_segment_align: 8
    .kernarg_segment_size: 320
    .language:       OpenCL C
    .language_version:
      - 2
      - 0
    .max_flat_workgroup_size: 1024
    .name:           _ZN2at6native12_GLOBAL__N_115adaptivemaxpoolIN3c108BFloat16EEEvPKT_PS5_Pliiiilll
    .private_segment_fixed_size: 0
    .sgpr_count:     59
    .sgpr_spill_count: 0
    .symbol:         _ZN2at6native12_GLOBAL__N_115adaptivemaxpoolIN3c108BFloat16EEEvPKT_PS5_Pliiiilll.kd
    .uniform_work_group_size: 1
    .uses_dynamic_stack: false
    .vgpr_count:     28
    .vgpr_spill_count: 0
    .wavefront_size: 64
  - .args:
      - .address_space:  global
        .offset:         0
        .size:           8
        .value_kind:     global_buffer
      - .address_space:  global
        .offset:         8
        .size:           8
        .value_kind:     global_buffer
      - .address_space:  global
        .offset:         16
        .size:           8
        .value_kind:     global_buffer
      - .offset:         24
        .size:           4
        .value_kind:     by_value
      - .offset:         28
        .size:           4
        .value_kind:     by_value
      - .offset:         32
        .size:           4
        .value_kind:     by_value
      - .offset:         36
        .size:           4
        .value_kind:     by_value
      - .offset:         40
        .size:           4
        .value_kind:     hidden_block_count_x
      - .offset:         44
        .size:           4
        .value_kind:     hidden_block_count_y
      - .offset:         48
        .size:           4
        .value_kind:     hidden_block_count_z
      - .offset:         52
        .size:           2
        .value_kind:     hidden_group_size_x
      - .offset:         54
        .size:           2
        .value_kind:     hidden_group_size_y
      - .offset:         56
        .size:           2
        .value_kind:     hidden_group_size_z
      - .offset:         58
        .size:           2
        .value_kind:     hidden_remainder_x
      - .offset:         60
        .size:           2
        .value_kind:     hidden_remainder_y
      - .offset:         62
        .size:           2
        .value_kind:     hidden_remainder_z
      - .offset:         80
        .size:           8
        .value_kind:     hidden_global_offset_x
      - .offset:         88
        .size:           8
        .value_kind:     hidden_global_offset_y
      - .offset:         96
        .size:           8
        .value_kind:     hidden_global_offset_z
      - .offset:         104
        .size:           2
        .value_kind:     hidden_grid_dims
    .group_segment_fixed_size: 0
    .kernarg_segment_align: 8
    .kernarg_segment_size: 296
    .language:       OpenCL C
    .language_version:
      - 2
      - 0
    .max_flat_workgroup_size: 1024
    .name:           _ZN2at6native12_GLOBAL__N_126atomicadaptivemaxgradinputIdEEvPT_PKS3_PKliiii
    .private_segment_fixed_size: 0
    .sgpr_count:     26
    .sgpr_spill_count: 0
    .symbol:         _ZN2at6native12_GLOBAL__N_126atomicadaptivemaxgradinputIdEEvPT_PKS3_PKliiii.kd
    .uniform_work_group_size: 1
    .uses_dynamic_stack: false
    .vgpr_count:     17
    .vgpr_spill_count: 0
    .wavefront_size: 64
  - .args:
      - .address_space:  global
        .offset:         0
        .size:           8
        .value_kind:     global_buffer
      - .address_space:  global
        .offset:         8
        .size:           8
        .value_kind:     global_buffer
      - .address_space:  global
        .offset:         16
        .size:           8
        .value_kind:     global_buffer
      - .offset:         24
        .size:           4
        .value_kind:     by_value
      - .offset:         28
        .size:           4
        .value_kind:     by_value
      - .offset:         32
        .size:           4
        .value_kind:     by_value
      - .offset:         36
        .size:           4
        .value_kind:     by_value
      - .offset:         40
        .size:           4
        .value_kind:     hidden_block_count_x
      - .offset:         44
        .size:           4
        .value_kind:     hidden_block_count_y
      - .offset:         48
        .size:           4
        .value_kind:     hidden_block_count_z
      - .offset:         52
        .size:           2
        .value_kind:     hidden_group_size_x
      - .offset:         54
        .size:           2
        .value_kind:     hidden_group_size_y
      - .offset:         56
        .size:           2
        .value_kind:     hidden_group_size_z
      - .offset:         58
        .size:           2
        .value_kind:     hidden_remainder_x
      - .offset:         60
        .size:           2
        .value_kind:     hidden_remainder_y
      - .offset:         62
        .size:           2
        .value_kind:     hidden_remainder_z
      - .offset:         80
        .size:           8
        .value_kind:     hidden_global_offset_x
      - .offset:         88
        .size:           8
        .value_kind:     hidden_global_offset_y
      - .offset:         96
        .size:           8
        .value_kind:     hidden_global_offset_z
      - .offset:         104
        .size:           2
        .value_kind:     hidden_grid_dims
    .group_segment_fixed_size: 0
    .kernarg_segment_align: 8
    .kernarg_segment_size: 296
    .language:       OpenCL C
    .language_version:
      - 2
      - 0
    .max_flat_workgroup_size: 1024
    .name:           _ZN2at6native12_GLOBAL__N_120adaptivemaxgradinputIdEEvPT_PKS3_PKliiii
    .private_segment_fixed_size: 0
    .sgpr_count:     24
    .sgpr_spill_count: 0
    .symbol:         _ZN2at6native12_GLOBAL__N_120adaptivemaxgradinputIdEEvPT_PKS3_PKliiii.kd
    .uniform_work_group_size: 1
    .uses_dynamic_stack: false
    .vgpr_count:     16
    .vgpr_spill_count: 0
    .wavefront_size: 64
  - .args:
      - .address_space:  global
        .offset:         0
        .size:           8
        .value_kind:     global_buffer
      - .address_space:  global
        .offset:         8
        .size:           8
        .value_kind:     global_buffer
      - .address_space:  global
        .offset:         16
        .size:           8
        .value_kind:     global_buffer
      - .offset:         24
        .size:           4
        .value_kind:     by_value
      - .offset:         28
        .size:           4
        .value_kind:     by_value
      - .offset:         32
        .size:           4
        .value_kind:     by_value
      - .offset:         36
        .size:           4
        .value_kind:     by_value
      - .offset:         40
        .size:           4
        .value_kind:     hidden_block_count_x
      - .offset:         44
        .size:           4
        .value_kind:     hidden_block_count_y
      - .offset:         48
        .size:           4
        .value_kind:     hidden_block_count_z
      - .offset:         52
        .size:           2
        .value_kind:     hidden_group_size_x
      - .offset:         54
        .size:           2
        .value_kind:     hidden_group_size_y
      - .offset:         56
        .size:           2
        .value_kind:     hidden_group_size_z
      - .offset:         58
        .size:           2
        .value_kind:     hidden_remainder_x
      - .offset:         60
        .size:           2
        .value_kind:     hidden_remainder_y
      - .offset:         62
        .size:           2
        .value_kind:     hidden_remainder_z
      - .offset:         80
        .size:           8
        .value_kind:     hidden_global_offset_x
      - .offset:         88
        .size:           8
        .value_kind:     hidden_global_offset_y
      - .offset:         96
        .size:           8
        .value_kind:     hidden_global_offset_z
      - .offset:         104
        .size:           2
        .value_kind:     hidden_grid_dims
    .group_segment_fixed_size: 0
    .kernarg_segment_align: 8
    .kernarg_segment_size: 296
    .language:       OpenCL C
    .language_version:
      - 2
      - 0
    .max_flat_workgroup_size: 1024
    .name:           _ZN2at6native12_GLOBAL__N_126atomicadaptivemaxgradinputIfEEvPT_PKS3_PKliiii
    .private_segment_fixed_size: 0
    .sgpr_count:     26
    .sgpr_spill_count: 0
    .symbol:         _ZN2at6native12_GLOBAL__N_126atomicadaptivemaxgradinputIfEEvPT_PKS3_PKliiii.kd
    .uniform_work_group_size: 1
    .uses_dynamic_stack: false
    .vgpr_count:     14
    .vgpr_spill_count: 0
    .wavefront_size: 64
  - .args:
      - .address_space:  global
        .offset:         0
        .size:           8
        .value_kind:     global_buffer
      - .address_space:  global
        .offset:         8
        .size:           8
        .value_kind:     global_buffer
      - .address_space:  global
        .offset:         16
        .size:           8
        .value_kind:     global_buffer
      - .offset:         24
        .size:           4
        .value_kind:     by_value
      - .offset:         28
        .size:           4
        .value_kind:     by_value
      - .offset:         32
        .size:           4
        .value_kind:     by_value
      - .offset:         36
        .size:           4
        .value_kind:     by_value
      - .offset:         40
        .size:           4
        .value_kind:     hidden_block_count_x
      - .offset:         44
        .size:           4
        .value_kind:     hidden_block_count_y
      - .offset:         48
        .size:           4
        .value_kind:     hidden_block_count_z
      - .offset:         52
        .size:           2
        .value_kind:     hidden_group_size_x
      - .offset:         54
        .size:           2
        .value_kind:     hidden_group_size_y
      - .offset:         56
        .size:           2
        .value_kind:     hidden_group_size_z
      - .offset:         58
        .size:           2
        .value_kind:     hidden_remainder_x
      - .offset:         60
        .size:           2
        .value_kind:     hidden_remainder_y
      - .offset:         62
        .size:           2
        .value_kind:     hidden_remainder_z
      - .offset:         80
        .size:           8
        .value_kind:     hidden_global_offset_x
      - .offset:         88
        .size:           8
        .value_kind:     hidden_global_offset_y
      - .offset:         96
        .size:           8
        .value_kind:     hidden_global_offset_z
      - .offset:         104
        .size:           2
        .value_kind:     hidden_grid_dims
    .group_segment_fixed_size: 0
    .kernarg_segment_align: 8
    .kernarg_segment_size: 296
    .language:       OpenCL C
    .language_version:
      - 2
      - 0
    .max_flat_workgroup_size: 1024
    .name:           _ZN2at6native12_GLOBAL__N_120adaptivemaxgradinputIfEEvPT_PKS3_PKliiii
    .private_segment_fixed_size: 0
    .sgpr_count:     22
    .sgpr_spill_count: 0
    .symbol:         _ZN2at6native12_GLOBAL__N_120adaptivemaxgradinputIfEEvPT_PKS3_PKliiii.kd
    .uniform_work_group_size: 1
    .uses_dynamic_stack: false
    .vgpr_count:     18
    .vgpr_spill_count: 0
    .wavefront_size: 64
  - .args:
      - .address_space:  global
        .offset:         0
        .size:           8
        .value_kind:     global_buffer
      - .address_space:  global
        .offset:         8
        .size:           8
        .value_kind:     global_buffer
      - .address_space:  global
        .offset:         16
        .size:           8
        .value_kind:     global_buffer
      - .offset:         24
        .size:           4
        .value_kind:     by_value
      - .offset:         28
        .size:           4
        .value_kind:     by_value
      - .offset:         32
        .size:           4
        .value_kind:     by_value
      - .offset:         36
        .size:           4
        .value_kind:     by_value
      - .offset:         40
        .size:           4
        .value_kind:     hidden_block_count_x
      - .offset:         44
        .size:           4
        .value_kind:     hidden_block_count_y
      - .offset:         48
        .size:           4
        .value_kind:     hidden_block_count_z
      - .offset:         52
        .size:           2
        .value_kind:     hidden_group_size_x
      - .offset:         54
        .size:           2
        .value_kind:     hidden_group_size_y
      - .offset:         56
        .size:           2
        .value_kind:     hidden_group_size_z
      - .offset:         58
        .size:           2
        .value_kind:     hidden_remainder_x
      - .offset:         60
        .size:           2
        .value_kind:     hidden_remainder_y
      - .offset:         62
        .size:           2
        .value_kind:     hidden_remainder_z
      - .offset:         80
        .size:           8
        .value_kind:     hidden_global_offset_x
      - .offset:         88
        .size:           8
        .value_kind:     hidden_global_offset_y
      - .offset:         96
        .size:           8
        .value_kind:     hidden_global_offset_z
      - .offset:         104
        .size:           2
        .value_kind:     hidden_grid_dims
    .group_segment_fixed_size: 0
    .kernarg_segment_align: 8
    .kernarg_segment_size: 296
    .language:       OpenCL C
    .language_version:
      - 2
      - 0
    .max_flat_workgroup_size: 1024
    .name:           _ZN2at6native12_GLOBAL__N_126atomicadaptivemaxgradinputIN3c104HalfEEEvPT_PKS5_PKliiii
    .private_segment_fixed_size: 0
    .sgpr_count:     28
    .sgpr_spill_count: 0
    .symbol:         _ZN2at6native12_GLOBAL__N_126atomicadaptivemaxgradinputIN3c104HalfEEEvPT_PKS5_PKliiii.kd
    .uniform_work_group_size: 1
    .uses_dynamic_stack: false
    .vgpr_count:     16
    .vgpr_spill_count: 0
    .wavefront_size: 64
  - .args:
      - .address_space:  global
        .offset:         0
        .size:           8
        .value_kind:     global_buffer
      - .address_space:  global
        .offset:         8
        .size:           8
        .value_kind:     global_buffer
      - .address_space:  global
        .offset:         16
        .size:           8
        .value_kind:     global_buffer
      - .offset:         24
        .size:           4
        .value_kind:     by_value
      - .offset:         28
        .size:           4
        .value_kind:     by_value
      - .offset:         32
        .size:           4
        .value_kind:     by_value
      - .offset:         36
        .size:           4
        .value_kind:     by_value
      - .offset:         40
        .size:           4
        .value_kind:     hidden_block_count_x
      - .offset:         44
        .size:           4
        .value_kind:     hidden_block_count_y
      - .offset:         48
        .size:           4
        .value_kind:     hidden_block_count_z
      - .offset:         52
        .size:           2
        .value_kind:     hidden_group_size_x
      - .offset:         54
        .size:           2
        .value_kind:     hidden_group_size_y
      - .offset:         56
        .size:           2
        .value_kind:     hidden_group_size_z
      - .offset:         58
        .size:           2
        .value_kind:     hidden_remainder_x
      - .offset:         60
        .size:           2
        .value_kind:     hidden_remainder_y
      - .offset:         62
        .size:           2
        .value_kind:     hidden_remainder_z
      - .offset:         80
        .size:           8
        .value_kind:     hidden_global_offset_x
      - .offset:         88
        .size:           8
        .value_kind:     hidden_global_offset_y
      - .offset:         96
        .size:           8
        .value_kind:     hidden_global_offset_z
      - .offset:         104
        .size:           2
        .value_kind:     hidden_grid_dims
    .group_segment_fixed_size: 0
    .kernarg_segment_align: 8
    .kernarg_segment_size: 296
    .language:       OpenCL C
    .language_version:
      - 2
      - 0
    .max_flat_workgroup_size: 1024
    .name:           _ZN2at6native12_GLOBAL__N_120adaptivemaxgradinputIN3c104HalfEEEvPT_PKS5_PKliiii
    .private_segment_fixed_size: 0
    .sgpr_count:     22
    .sgpr_spill_count: 0
    .symbol:         _ZN2at6native12_GLOBAL__N_120adaptivemaxgradinputIN3c104HalfEEEvPT_PKS5_PKliiii.kd
    .uniform_work_group_size: 1
    .uses_dynamic_stack: false
    .vgpr_count:     18
    .vgpr_spill_count: 0
    .wavefront_size: 64
  - .args:
      - .address_space:  global
        .offset:         0
        .size:           8
        .value_kind:     global_buffer
      - .address_space:  global
        .offset:         8
        .size:           8
        .value_kind:     global_buffer
      - .address_space:  global
        .offset:         16
        .size:           8
        .value_kind:     global_buffer
      - .offset:         24
        .size:           4
        .value_kind:     by_value
      - .offset:         28
        .size:           4
        .value_kind:     by_value
      - .offset:         32
        .size:           4
        .value_kind:     by_value
      - .offset:         36
        .size:           4
        .value_kind:     by_value
      - .offset:         40
        .size:           4
        .value_kind:     hidden_block_count_x
      - .offset:         44
        .size:           4
        .value_kind:     hidden_block_count_y
      - .offset:         48
        .size:           4
        .value_kind:     hidden_block_count_z
      - .offset:         52
        .size:           2
        .value_kind:     hidden_group_size_x
      - .offset:         54
        .size:           2
        .value_kind:     hidden_group_size_y
      - .offset:         56
        .size:           2
        .value_kind:     hidden_group_size_z
      - .offset:         58
        .size:           2
        .value_kind:     hidden_remainder_x
      - .offset:         60
        .size:           2
        .value_kind:     hidden_remainder_y
      - .offset:         62
        .size:           2
        .value_kind:     hidden_remainder_z
      - .offset:         80
        .size:           8
        .value_kind:     hidden_global_offset_x
      - .offset:         88
        .size:           8
        .value_kind:     hidden_global_offset_y
      - .offset:         96
        .size:           8
        .value_kind:     hidden_global_offset_z
      - .offset:         104
        .size:           2
        .value_kind:     hidden_grid_dims
    .group_segment_fixed_size: 0
    .kernarg_segment_align: 8
    .kernarg_segment_size: 296
    .language:       OpenCL C
    .language_version:
      - 2
      - 0
    .max_flat_workgroup_size: 1024
    .name:           _ZN2at6native12_GLOBAL__N_126atomicadaptivemaxgradinputIN3c108BFloat16EEEvPT_PKS5_PKliiii
    .private_segment_fixed_size: 0
    .sgpr_count:     28
    .sgpr_spill_count: 0
    .symbol:         _ZN2at6native12_GLOBAL__N_126atomicadaptivemaxgradinputIN3c108BFloat16EEEvPT_PKS5_PKliiii.kd
    .uniform_work_group_size: 1
    .uses_dynamic_stack: false
    .vgpr_count:     17
    .vgpr_spill_count: 0
    .wavefront_size: 64
  - .args:
      - .address_space:  global
        .offset:         0
        .size:           8
        .value_kind:     global_buffer
      - .address_space:  global
        .offset:         8
        .size:           8
        .value_kind:     global_buffer
      - .address_space:  global
        .offset:         16
        .size:           8
        .value_kind:     global_buffer
      - .offset:         24
        .size:           4
        .value_kind:     by_value
      - .offset:         28
        .size:           4
        .value_kind:     by_value
      - .offset:         32
        .size:           4
        .value_kind:     by_value
      - .offset:         36
        .size:           4
        .value_kind:     by_value
      - .offset:         40
        .size:           4
        .value_kind:     hidden_block_count_x
      - .offset:         44
        .size:           4
        .value_kind:     hidden_block_count_y
      - .offset:         48
        .size:           4
        .value_kind:     hidden_block_count_z
      - .offset:         52
        .size:           2
        .value_kind:     hidden_group_size_x
      - .offset:         54
        .size:           2
        .value_kind:     hidden_group_size_y
      - .offset:         56
        .size:           2
        .value_kind:     hidden_group_size_z
      - .offset:         58
        .size:           2
        .value_kind:     hidden_remainder_x
      - .offset:         60
        .size:           2
        .value_kind:     hidden_remainder_y
      - .offset:         62
        .size:           2
        .value_kind:     hidden_remainder_z
      - .offset:         80
        .size:           8
        .value_kind:     hidden_global_offset_x
      - .offset:         88
        .size:           8
        .value_kind:     hidden_global_offset_y
      - .offset:         96
        .size:           8
        .value_kind:     hidden_global_offset_z
      - .offset:         104
        .size:           2
        .value_kind:     hidden_grid_dims
    .group_segment_fixed_size: 0
    .kernarg_segment_align: 8
    .kernarg_segment_size: 296
    .language:       OpenCL C
    .language_version:
      - 2
      - 0
    .max_flat_workgroup_size: 1024
    .name:           _ZN2at6native12_GLOBAL__N_120adaptivemaxgradinputIN3c108BFloat16EEEvPT_PKS5_PKliiii
    .private_segment_fixed_size: 0
    .sgpr_count:     22
    .sgpr_spill_count: 0
    .symbol:         _ZN2at6native12_GLOBAL__N_120adaptivemaxgradinputIN3c108BFloat16EEEvPT_PKS5_PKliiii.kd
    .uniform_work_group_size: 1
    .uses_dynamic_stack: false
    .vgpr_count:     19
    .vgpr_spill_count: 0
    .wavefront_size: 64
amdhsa.target:   amdgcn-amd-amdhsa--gfx906
amdhsa.version:
  - 1
  - 2
...

	.end_amdgpu_metadata
